;; amdgpu-corpus repo=ROCm/rocFFT kind=compiled arch=gfx950 opt=O3
	.text
	.amdgcn_target "amdgcn-amd-amdhsa--gfx950"
	.amdhsa_code_object_version 6
	.protected	fft_rtc_back_len272_factors_16_17_wgs_119_tpt_17_halfLds_sp_ip_CI_unitstride_sbrr_C2R_dirReg ; -- Begin function fft_rtc_back_len272_factors_16_17_wgs_119_tpt_17_halfLds_sp_ip_CI_unitstride_sbrr_C2R_dirReg
	.globl	fft_rtc_back_len272_factors_16_17_wgs_119_tpt_17_halfLds_sp_ip_CI_unitstride_sbrr_C2R_dirReg
	.p2align	8
	.type	fft_rtc_back_len272_factors_16_17_wgs_119_tpt_17_halfLds_sp_ip_CI_unitstride_sbrr_C2R_dirReg,@function
fft_rtc_back_len272_factors_16_17_wgs_119_tpt_17_halfLds_sp_ip_CI_unitstride_sbrr_C2R_dirReg: ; @fft_rtc_back_len272_factors_16_17_wgs_119_tpt_17_halfLds_sp_ip_CI_unitstride_sbrr_C2R_dirReg
; %bb.0:
	s_load_dwordx2 s[8:9], s[0:1], 0x50
	s_load_dwordx4 s[4:7], s[0:1], 0x0
	s_load_dwordx2 s[10:11], s[0:1], 0x18
	v_mul_u32_u24_e32 v1, 0xf10, v0
	v_lshrrev_b32_e32 v2, 16, v1
	v_mad_u64_u32 v[2:3], s[2:3], s2, 7, v[2:3]
	v_mov_b32_e32 v6, 0
	v_mov_b32_e32 v3, v6
	s_waitcnt lgkmcnt(0)
	v_cmp_lt_u64_e64 s[2:3], s[6:7], 2
	s_and_b64 vcc, exec, s[2:3]
	v_mov_b64_e32 v[4:5], 0
	v_mov_b64_e32 v[10:11], v[2:3]
	s_cbranch_vccnz .LBB0_8
; %bb.1:
	s_load_dwordx2 s[2:3], s[0:1], 0x10
	s_add_u32 s12, s10, 8
	s_addc_u32 s13, s11, 0
	s_mov_b64 s[14:15], 1
	v_mov_b64_e32 v[4:5], 0
	s_waitcnt lgkmcnt(0)
	s_add_u32 s16, s2, 8
	s_addc_u32 s17, s3, 0
	v_mov_b64_e32 v[8:9], v[2:3]
.LBB0_2:                                ; =>This Inner Loop Header: Depth=1
	s_load_dwordx2 s[18:19], s[16:17], 0x0
                                        ; implicit-def: $vgpr10_vgpr11
	s_waitcnt lgkmcnt(0)
	v_or_b32_e32 v7, s19, v9
	v_cmp_ne_u64_e32 vcc, 0, v[6:7]
	s_and_saveexec_b64 s[2:3], vcc
	s_xor_b64 s[20:21], exec, s[2:3]
	s_cbranch_execz .LBB0_4
; %bb.3:                                ;   in Loop: Header=BB0_2 Depth=1
	v_cvt_f32_u32_e32 v1, s18
	v_cvt_f32_u32_e32 v3, s19
	s_sub_u32 s2, 0, s18
	s_subb_u32 s3, 0, s19
	v_fmac_f32_e32 v1, 0x4f800000, v3
	v_rcp_f32_e32 v1, v1
	s_nop 0
	v_mul_f32_e32 v1, 0x5f7ffffc, v1
	v_mul_f32_e32 v3, 0x2f800000, v1
	v_trunc_f32_e32 v3, v3
	v_fmac_f32_e32 v1, 0xcf800000, v3
	v_cvt_u32_f32_e32 v3, v3
	v_cvt_u32_f32_e32 v1, v1
	v_mul_lo_u32 v7, s2, v3
	v_mul_hi_u32 v10, s2, v1
	v_mul_lo_u32 v11, s3, v1
	v_add_u32_e32 v7, v10, v7
	v_mul_lo_u32 v14, s2, v1
	v_add_u32_e32 v7, v7, v11
	v_mul_hi_u32 v10, v1, v14
	v_mul_hi_u32 v13, v1, v7
	v_mul_lo_u32 v12, v1, v7
	v_mov_b32_e32 v11, v6
	v_lshl_add_u64 v[10:11], v[10:11], 0, v[12:13]
	v_mul_hi_u32 v13, v3, v14
	v_mul_lo_u32 v14, v3, v14
	v_add_co_u32_e32 v10, vcc, v10, v14
	v_mul_hi_u32 v12, v3, v7
	s_nop 0
	v_addc_co_u32_e32 v10, vcc, v11, v13, vcc
	v_mov_b32_e32 v11, v6
	s_nop 0
	v_addc_co_u32_e32 v13, vcc, 0, v12, vcc
	v_mul_lo_u32 v12, v3, v7
	v_lshl_add_u64 v[10:11], v[10:11], 0, v[12:13]
	v_add_co_u32_e32 v1, vcc, v1, v10
	v_mul_hi_u32 v10, s2, v1
	s_nop 0
	v_addc_co_u32_e32 v3, vcc, v3, v11, vcc
	v_mul_lo_u32 v7, s2, v3
	v_add_u32_e32 v7, v10, v7
	v_mul_lo_u32 v10, s3, v1
	v_add_u32_e32 v7, v7, v10
	v_mul_lo_u32 v12, s2, v1
	v_mul_hi_u32 v15, v3, v12
	v_mul_lo_u32 v16, v3, v12
	v_mul_hi_u32 v11, v1, v7
	;; [unrolled: 2-line block ×3, first 2 shown]
	v_mov_b32_e32 v13, v6
	v_lshl_add_u64 v[10:11], v[12:13], 0, v[10:11]
	v_add_co_u32_e32 v10, vcc, v10, v16
	v_mul_hi_u32 v14, v3, v7
	s_nop 0
	v_addc_co_u32_e32 v10, vcc, v11, v15, vcc
	v_mul_lo_u32 v12, v3, v7
	s_nop 0
	v_addc_co_u32_e32 v13, vcc, 0, v14, vcc
	v_mov_b32_e32 v11, v6
	v_lshl_add_u64 v[10:11], v[10:11], 0, v[12:13]
	v_add_co_u32_e32 v1, vcc, v1, v10
	v_mul_hi_u32 v12, v8, v1
	s_nop 0
	v_addc_co_u32_e32 v3, vcc, v3, v11, vcc
	v_mad_u64_u32 v[10:11], s[2:3], v8, v3, 0
	v_mov_b32_e32 v13, v6
	v_lshl_add_u64 v[10:11], v[12:13], 0, v[10:11]
	v_mad_u64_u32 v[14:15], s[2:3], v9, v1, 0
	v_add_co_u32_e32 v1, vcc, v10, v14
	v_mad_u64_u32 v[12:13], s[2:3], v9, v3, 0
	s_nop 0
	v_addc_co_u32_e32 v10, vcc, v11, v15, vcc
	v_mov_b32_e32 v11, v6
	s_nop 0
	v_addc_co_u32_e32 v13, vcc, 0, v13, vcc
	v_lshl_add_u64 v[10:11], v[10:11], 0, v[12:13]
	v_mul_lo_u32 v1, s19, v10
	v_mul_lo_u32 v3, s18, v11
	v_mad_u64_u32 v[12:13], s[2:3], s18, v10, 0
	v_add3_u32 v1, v13, v3, v1
	v_sub_u32_e32 v3, v9, v1
	v_mov_b32_e32 v7, s19
	v_sub_co_u32_e32 v16, vcc, v8, v12
	v_lshl_add_u64 v[14:15], v[10:11], 0, 1
	s_nop 0
	v_subb_co_u32_e64 v3, s[2:3], v3, v7, vcc
	v_subrev_co_u32_e64 v7, s[2:3], s18, v16
	v_subb_co_u32_e32 v1, vcc, v9, v1, vcc
	s_nop 0
	v_subbrev_co_u32_e64 v3, s[2:3], 0, v3, s[2:3]
	v_cmp_le_u32_e64 s[2:3], s19, v3
	v_cmp_le_u32_e32 vcc, s19, v1
	s_nop 0
	v_cndmask_b32_e64 v12, 0, -1, s[2:3]
	v_cmp_le_u32_e64 s[2:3], s18, v7
	s_nop 1
	v_cndmask_b32_e64 v7, 0, -1, s[2:3]
	v_cmp_eq_u32_e64 s[2:3], s19, v3
	s_nop 1
	v_cndmask_b32_e64 v3, v12, v7, s[2:3]
	v_lshl_add_u64 v[12:13], v[10:11], 0, 2
	v_cmp_ne_u32_e64 s[2:3], 0, v3
	v_cndmask_b32_e64 v7, 0, -1, vcc
	v_cmp_le_u32_e32 vcc, s18, v16
	v_cndmask_b32_e64 v3, v15, v13, s[2:3]
	s_nop 0
	v_cndmask_b32_e64 v13, 0, -1, vcc
	v_cmp_eq_u32_e32 vcc, s19, v1
	s_nop 1
	v_cndmask_b32_e32 v1, v7, v13, vcc
	v_cmp_ne_u32_e32 vcc, 0, v1
	v_cndmask_b32_e64 v1, v14, v12, s[2:3]
	s_nop 0
	v_cndmask_b32_e32 v11, v11, v3, vcc
	v_cndmask_b32_e32 v10, v10, v1, vcc
.LBB0_4:                                ;   in Loop: Header=BB0_2 Depth=1
	s_andn2_saveexec_b64 s[2:3], s[20:21]
	s_cbranch_execz .LBB0_6
; %bb.5:                                ;   in Loop: Header=BB0_2 Depth=1
	v_cvt_f32_u32_e32 v1, s18
	s_sub_i32 s20, 0, s18
	v_mov_b32_e32 v11, v6
	v_rcp_iflag_f32_e32 v1, v1
	s_nop 0
	v_mul_f32_e32 v1, 0x4f7ffffe, v1
	v_cvt_u32_f32_e32 v1, v1
	v_mul_lo_u32 v3, s20, v1
	v_mul_hi_u32 v3, v1, v3
	v_add_u32_e32 v1, v1, v3
	v_mul_hi_u32 v1, v8, v1
	v_mul_lo_u32 v3, v1, s18
	v_sub_u32_e32 v3, v8, v3
	v_add_u32_e32 v7, 1, v1
	v_subrev_u32_e32 v10, s18, v3
	v_cmp_le_u32_e32 vcc, s18, v3
	s_nop 1
	v_cndmask_b32_e32 v3, v3, v10, vcc
	v_cndmask_b32_e32 v1, v1, v7, vcc
	v_add_u32_e32 v7, 1, v1
	v_cmp_le_u32_e32 vcc, s18, v3
	s_nop 1
	v_cndmask_b32_e32 v10, v1, v7, vcc
.LBB0_6:                                ;   in Loop: Header=BB0_2 Depth=1
	s_or_b64 exec, exec, s[2:3]
	v_mad_u64_u32 v[12:13], s[2:3], v10, s18, 0
	s_load_dwordx2 s[2:3], s[12:13], 0x0
	s_add_u32 s14, s14, 1
	v_mul_lo_u32 v1, v11, s18
	v_mul_lo_u32 v3, v10, s19
	s_addc_u32 s15, s15, 0
	v_add3_u32 v1, v13, v3, v1
	v_sub_co_u32_e32 v3, vcc, v8, v12
	s_add_u32 s12, s12, 8
	s_nop 0
	v_subb_co_u32_e32 v1, vcc, v9, v1, vcc
	s_addc_u32 s13, s13, 0
	v_mov_b64_e32 v[8:9], s[6:7]
	s_waitcnt lgkmcnt(0)
	v_mul_lo_u32 v1, s2, v1
	v_mul_lo_u32 v7, s3, v3
	v_mad_u64_u32 v[4:5], s[2:3], s2, v3, v[4:5]
	s_add_u32 s16, s16, 8
	v_cmp_ge_u64_e32 vcc, s[14:15], v[8:9]
	v_add3_u32 v5, v7, v5, v1
	s_addc_u32 s17, s17, 0
	s_cbranch_vccnz .LBB0_8
; %bb.7:                                ;   in Loop: Header=BB0_2 Depth=1
	v_mov_b64_e32 v[8:9], v[10:11]
	s_branch .LBB0_2
.LBB0_8:
	s_lshl_b64 s[2:3], s[6:7], 3
	s_add_u32 s2, s10, s2
	s_addc_u32 s3, s11, s3
	s_load_dwordx2 s[6:7], s[2:3], 0x0
	s_load_dwordx2 s[10:11], s[0:1], 0x20
	s_waitcnt lgkmcnt(0)
	v_mad_u64_u32 v[4:5], s[0:1], s6, v10, v[4:5]
	v_mul_lo_u32 v1, s6, v11
	v_mul_lo_u32 v3, s7, v10
	s_mov_b32 s0, 0x24924925
	v_add3_u32 v5, v3, v5, v1
	v_mul_hi_u32 v1, v2, s0
	v_sub_u32_e32 v3, v2, v1
	v_lshrrev_b32_e32 v3, 1, v3
	v_add_u32_e32 v1, v3, v1
	v_lshrrev_b32_e32 v1, 2, v1
	v_mul_lo_u32 v1, v1, 7
	s_mov_b32 s0, 0xf0f0f10
	v_sub_u32_e32 v1, v2, v1
	v_mul_hi_u32 v2, v0, s0
	v_mul_u32_u24_e32 v1, 0x111, v1
	v_mul_u32_u24_e32 v2, 17, v2
	v_cmp_gt_u64_e32 vcc, s[10:11], v[10:11]
	v_sub_u32_e32 v24, v0, v2
	v_lshl_add_u64 v[252:253], v[4:5], 3, s[8:9]
	v_lshlrev_b32_e32 v6, 3, v1
	s_and_saveexec_b64 s[2:3], vcc
	s_cbranch_execz .LBB0_12
; %bb.9:
	v_mov_b32_e32 v25, 0
	v_lshl_add_u64 v[2:3], v[24:25], 3, v[252:253]
	global_load_dwordx2 v[4:5], v[2:3], off
	global_load_dwordx2 v[8:9], v[2:3], off offset:136
	global_load_dwordx2 v[10:11], v[2:3], off offset:272
	;; [unrolled: 1-line block ×14, first 2 shown]
	s_nop 0
	global_load_dwordx2 v[2:3], v[2:3], off offset:2040
	v_lshlrev_b32_e32 v0, 3, v24
	v_add3_u32 v0, 0, v6, v0
	v_cmp_eq_u32_e64 s[0:1], 16, v24
	s_waitcnt vmcnt(14)
	ds_write2_b64 v0, v[4:5], v[8:9] offset1:17
	s_waitcnt vmcnt(12)
	ds_write2_b64 v0, v[10:11], v[12:13] offset0:34 offset1:51
	s_waitcnt vmcnt(10)
	ds_write2_b64 v0, v[14:15], v[16:17] offset0:68 offset1:85
	;; [unrolled: 2-line block ×7, first 2 shown]
	s_and_saveexec_b64 s[6:7], s[0:1]
	s_cbranch_execz .LBB0_11
; %bb.10:
	global_load_dwordx2 v[2:3], v[252:253], off offset:2176
	v_mov_b32_e32 v24, 16
	s_waitcnt vmcnt(0)
	ds_write_b64 v0, v[2:3] offset:2048
.LBB0_11:
	s_or_b64 exec, exec, s[6:7]
.LBB0_12:
	s_or_b64 exec, exec, s[2:3]
	v_lshl_add_u32 v62, v1, 3, 0
	v_lshlrev_b32_e32 v5, 3, v24
	v_add_u32_e32 v64, v62, v5
	s_waitcnt lgkmcnt(0)
	s_barrier
	v_sub_u32_e32 v4, v62, v5
	ds_read_b32 v1, v64
	ds_read_b32 v2, v4 offset:2176
	v_cmp_ne_u32_e64 s[0:1], 0, v24
	s_waitcnt lgkmcnt(0)
	v_add_f32_e32 v0, v2, v1
	v_sub_f32_e32 v1, v1, v2
                                        ; implicit-def: $vgpr2_vgpr3
	s_and_saveexec_b64 s[2:3], s[0:1]
	s_xor_b64 s[0:1], exec, s[2:3]
	s_cbranch_execz .LBB0_14
; %bb.13:
	v_mov_b32_e32 v25, 0
	v_lshl_add_u64 v[2:3], v[24:25], 3, s[4:5]
	global_load_dwordx2 v[2:3], v[2:3], off offset:2048
	ds_read_b32 v7, v4 offset:2180
	ds_read_b32 v11, v64 offset:4
	v_mov_b32_e32 v10, v1
	v_mov_b32_e32 v9, v1
	s_waitcnt lgkmcnt(0)
	v_add_f32_e32 v8, v7, v11
	v_sub_f32_e32 v7, v11, v7
	v_mov_b32_e32 v11, v8
	v_mov_b32_e32 v1, v7
	s_waitcnt vmcnt(0)
	v_pk_mul_f32 v[12:13], v[10:11], v[2:3] op_sel:[0,1]
	v_pk_fma_f32 v[10:11], v[10:11], v[2:3], v[0:1] op_sel:[0,1,0]
	v_mov_b32_e32 v1, v13
	v_mov_b32_e32 v13, v7
	v_pk_fma_f32 v[14:15], v[2:3], v[8:9], v[10:11] neg_lo:[1,0,0] neg_hi:[1,0,0]
	v_pk_fma_f32 v[10:11], v[2:3], v[8:9], v[10:11] op_sel_hi:[0,1,1]
	v_pk_add_f32 v[0:1], v[0:1], v[12:13] neg_lo:[0,1] neg_hi:[0,1]
	v_mov_b32_e32 v15, v11
	v_pk_fma_f32 v[0:1], v[2:3], v[8:9], v[0:1] op_sel_hi:[0,1,1]
	ds_write_b64 v64, v[14:15]
	ds_write_b64 v4, v[0:1] offset:2176
	v_mov_b64_e32 v[2:3], v[24:25]
                                        ; implicit-def: $vgpr0
.LBB0_14:
	s_andn2_saveexec_b64 s[0:1], s[0:1]
	s_cbranch_execz .LBB0_16
; %bb.15:
	ds_write_b64 v64, v[0:1]
	ds_read_b64 v[0:1], v62 offset:1088
	s_mov_b32 s2, 2.0
	s_mov_b32 s3, -2.0
	v_mov_b64_e32 v[2:3], 0
	s_waitcnt lgkmcnt(0)
	v_pk_mul_f32 v[0:1], v[0:1], s[2:3]
	ds_write_b64 v62, v[0:1] offset:1088
.LBB0_16:
	s_or_b64 exec, exec, s[0:1]
	s_add_u32 s0, s4, 0x800
	s_addc_u32 s1, s5, 0
	v_lshl_add_u64 v[0:1], v[2:3], 3, s[0:1]
	global_load_dwordx2 v[2:3], v[0:1], off offset:136
	global_load_dwordx2 v[8:9], v[0:1], off offset:272
	;; [unrolled: 1-line block ×4, first 2 shown]
	v_xor_b32_e32 v7, 0xff, v24
	v_lshl_add_u32 v7, v7, 3, v62
	ds_read_b64 v[14:15], v7
	ds_read_b64 v[16:17], v64 offset:136
	global_load_dwordx2 v[18:19], v[0:1], off offset:680
	v_add3_u32 v25, 0, v5, v6
	s_mov_b32 s0, 0x3f3504f3
	s_mov_b32 s6, 0x3ec3ef15
	s_waitcnt lgkmcnt(0)
	v_pk_add_f32 v[20:21], v[16:17], v[14:15] neg_lo:[0,1] neg_hi:[0,1]
	v_pk_add_f32 v[14:15], v[16:17], v[14:15]
	v_mov_b32_e32 v16, v20
	v_mov_b32_e32 v17, v15
	;; [unrolled: 1-line block ×6, first 2 shown]
	s_mov_b32 s2, 0x3f6c835e
	s_mov_b32 s3, s0
	;; [unrolled: 1-line block ×7, first 2 shown]
	s_waitcnt vmcnt(4)
	v_pk_mul_f32 v[30:31], v[16:17], v[2:3] op_sel:[0,1]
	v_pk_fma_f32 v[16:17], v[16:17], v[2:3], v[26:27] op_sel:[0,1,0]
	v_mov_b32_e32 v15, v31
	v_mov_b32_e32 v31, v21
	v_pk_fma_f32 v[26:27], v[2:3], v[28:29], v[16:17] neg_lo:[1,0,0] neg_hi:[1,0,0]
	v_pk_fma_f32 v[16:17], v[2:3], v[28:29], v[16:17] op_sel_hi:[0,1,1]
	v_pk_add_f32 v[14:15], v[14:15], v[30:31] neg_lo:[0,1] neg_hi:[0,1]
	v_mov_b32_e32 v27, v17
	v_pk_fma_f32 v[2:3], v[2:3], v[28:29], v[14:15] op_sel_hi:[0,1,1]
	ds_write_b64 v64, v[26:27] offset:136
	ds_write_b64 v7, v[2:3]
	ds_read_b64 v[2:3], v4 offset:1904
	ds_read_b64 v[14:15], v64 offset:272
	global_load_dwordx2 v[16:17], v[0:1], off offset:816
	s_waitcnt lgkmcnt(0)
	v_pk_add_f32 v[20:21], v[14:15], v[2:3]
	v_pk_add_f32 v[2:3], v[14:15], v[2:3] neg_lo:[0,1] neg_hi:[0,1]
	v_mov_b32_e32 v14, v21
	v_mov_b32_e32 v15, v2
	;; [unrolled: 1-line block ×3, first 2 shown]
	s_waitcnt vmcnt(4)
	v_pk_mul_f32 v[26:27], v[14:15], v[8:9] op_sel:[0,1]
	s_nop 0
	v_pk_add_f32 v[28:29], v[20:21], v[26:27] op_sel:[0,1] op_sel_hi:[1,0]
	v_mov_b32_e32 v21, v26
	v_mov_b32_e32 v2, v27
	v_pk_fma_f32 v[26:27], v[8:9], v[14:15], v[28:29] neg_lo:[1,0,0] neg_hi:[1,0,0]
	v_pk_fma_f32 v[28:29], v[8:9], v[14:15], v[28:29] op_sel_hi:[0,1,1]
	v_pk_add_f32 v[2:3], v[20:21], v[2:3] neg_lo:[0,1] neg_hi:[0,1]
	v_mov_b32_e32 v27, v29
	v_pk_fma_f32 v[2:3], v[8:9], v[14:15], v[2:3] op_sel_hi:[0,1,1]
	ds_write_b64 v64, v[26:27] offset:272
	ds_write_b64 v4, v[2:3] offset:1904
	ds_read_b64 v[2:3], v4 offset:1768
	ds_read_b64 v[8:9], v64 offset:408
	global_load_dwordx2 v[0:1], v[0:1], off offset:952
	s_waitcnt lgkmcnt(0)
	v_pk_add_f32 v[14:15], v[8:9], v[2:3]
	v_pk_add_f32 v[2:3], v[8:9], v[2:3] neg_lo:[0,1] neg_hi:[0,1]
	v_mov_b32_e32 v8, v15
	v_mov_b32_e32 v9, v2
	v_mov_b32_e32 v15, v3
	s_waitcnt vmcnt(4)
	v_pk_mul_f32 v[20:21], v[8:9], v[10:11] op_sel:[0,1]
	s_nop 0
	v_pk_add_f32 v[26:27], v[14:15], v[20:21] op_sel:[0,1] op_sel_hi:[1,0]
	v_mov_b32_e32 v15, v20
	v_mov_b32_e32 v2, v21
	v_pk_fma_f32 v[20:21], v[10:11], v[8:9], v[26:27] neg_lo:[1,0,0] neg_hi:[1,0,0]
	v_pk_fma_f32 v[26:27], v[10:11], v[8:9], v[26:27] op_sel_hi:[0,1,1]
	v_pk_add_f32 v[2:3], v[14:15], v[2:3] neg_lo:[0,1] neg_hi:[0,1]
	v_mov_b32_e32 v21, v27
	v_pk_fma_f32 v[2:3], v[10:11], v[8:9], v[2:3] op_sel_hi:[0,1,1]
	ds_write_b64 v64, v[20:21] offset:408
	ds_write_b64 v4, v[2:3] offset:1768
	ds_read_b64 v[2:3], v4 offset:1632
	ds_read_b64 v[8:9], v64 offset:544
	s_waitcnt lgkmcnt(0)
	v_pk_add_f32 v[10:11], v[8:9], v[2:3]
	v_pk_add_f32 v[2:3], v[8:9], v[2:3] neg_lo:[0,1] neg_hi:[0,1]
	v_mov_b32_e32 v8, v11
	v_mov_b32_e32 v9, v2
	v_mov_b32_e32 v11, v3
	s_waitcnt vmcnt(3)
	v_pk_mul_f32 v[14:15], v[8:9], v[12:13] op_sel:[0,1]
	s_nop 0
	v_pk_add_f32 v[20:21], v[10:11], v[14:15] op_sel:[0,1] op_sel_hi:[1,0]
	v_mov_b32_e32 v11, v14
	v_mov_b32_e32 v2, v15
	v_pk_fma_f32 v[14:15], v[12:13], v[8:9], v[20:21] neg_lo:[1,0,0] neg_hi:[1,0,0]
	v_pk_fma_f32 v[20:21], v[12:13], v[8:9], v[20:21] op_sel_hi:[0,1,1]
	v_pk_add_f32 v[2:3], v[10:11], v[2:3] neg_lo:[0,1] neg_hi:[0,1]
	v_mov_b32_e32 v15, v21
	v_pk_fma_f32 v[2:3], v[12:13], v[8:9], v[2:3] op_sel_hi:[0,1,1]
	ds_write_b64 v64, v[14:15] offset:544
	ds_write_b64 v4, v[2:3] offset:1632
	ds_read_b64 v[2:3], v4 offset:1496
	ds_read_b64 v[8:9], v64 offset:680
	;; [unrolled: 21-line block ×4, first 2 shown]
	s_waitcnt lgkmcnt(0)
	v_pk_add_f32 v[10:11], v[8:9], v[2:3]
	v_pk_add_f32 v[2:3], v[8:9], v[2:3] neg_lo:[0,1] neg_hi:[0,1]
	v_mov_b32_e32 v8, v11
	v_mov_b32_e32 v9, v2
	;; [unrolled: 1-line block ×3, first 2 shown]
	s_waitcnt vmcnt(0)
	v_pk_mul_f32 v[12:13], v[8:9], v[0:1] op_sel:[0,1]
	s_nop 0
	v_pk_add_f32 v[14:15], v[10:11], v[12:13] op_sel:[0,1] op_sel_hi:[1,0]
	v_mov_b32_e32 v11, v12
	v_mov_b32_e32 v2, v13
	v_pk_fma_f32 v[12:13], v[0:1], v[8:9], v[14:15] neg_lo:[1,0,0] neg_hi:[1,0,0]
	v_pk_fma_f32 v[14:15], v[0:1], v[8:9], v[14:15] op_sel_hi:[0,1,1]
	v_pk_add_f32 v[2:3], v[10:11], v[2:3] neg_lo:[0,1] neg_hi:[0,1]
	v_mov_b32_e32 v13, v15
	v_pk_fma_f32 v[0:1], v[0:1], v[8:9], v[2:3] op_sel_hi:[0,1,1]
	ds_write_b64 v64, v[12:13] offset:952
	ds_write_b64 v4, v[0:1] offset:1224
	s_waitcnt lgkmcnt(0)
	s_barrier
	s_barrier
	ds_read2_b64 v[0:3], v25 offset0:17 offset1:34
	ds_read2_b64 v[8:11], v25 offset0:51 offset1:68
	;; [unrolled: 1-line block ×4, first 2 shown]
	ds_read_b64 v[4:5], v64
	ds_read2_b64 v[26:29], v25 offset0:187 offset1:204
	ds_read2_b64 v[30:33], v25 offset0:85 offset1:102
	;; [unrolled: 1-line block ×3, first 2 shown]
	ds_read_b64 v[20:21], v25 offset:2040
	s_waitcnt lgkmcnt(4)
	v_sub_f32_e32 v38, v5, v15
	v_add_f32_e32 v39, v5, v5
	v_mov_b32_e32 v5, v10
	s_waitcnt lgkmcnt(3)
	v_mov_b32_e32 v15, v28
	v_add_f32_e32 v41, v4, v4
	v_pk_add_f32 v[4:5], v[4:5], v[14:15] neg_lo:[0,1] neg_hi:[0,1]
	v_sub_f32_e32 v42, v11, v29
	v_add_f32_e32 v43, v10, v10
	v_sub_f32_e32 v44, v0, v16
	s_waitcnt lgkmcnt(1)
	v_pk_add_f32 v[14:15], v[30:31], v[34:35] neg_lo:[0,1] neg_hi:[0,1]
	v_mov_b32_e32 v40, v4
	v_mov_b32_e32 v34, 2.0
	v_mov_b32_e32 v35, v4
	v_add_f32_e32 v45, v0, v0
	v_pk_add_f32 v[40:41], v[40:41], v[34:35] neg_lo:[0,1] neg_hi:[0,1]
	v_pk_add_f32 v[46:47], v[42:43], v[4:5]
	v_pk_add_f32 v[48:49], v[42:43], v[4:5] neg_lo:[0,1] neg_hi:[0,1]
	v_mov_b32_e32 v35, v44
	v_add_f32_e32 v29, v30, v30
	v_mov_b32_e32 v47, v49
	v_pk_add_f32 v[48:49], v[44:45], v[44:45]
	v_pk_add_f32 v[50:51], v[44:45], v[34:35] neg_lo:[0,1] neg_hi:[0,1]
	v_mov_b32_e32 v28, v15
	v_mov_b32_e32 v45, v14
	v_sub_f32_e32 v0, v1, v17
	v_pk_add_f32 v[52:53], v[28:29], v[44:45]
	v_pk_add_f32 v[28:29], v[28:29], v[44:45] neg_lo:[0,1] neg_hi:[0,1]
	v_add_f32_e32 v1, v1, v1
	v_add_f32_e32 v7, v31, v31
	v_mov_b32_e32 v35, v0
	v_mov_b32_e32 v53, v29
	v_pk_add_f32 v[16:17], v[0:1], v[0:1]
	v_pk_add_f32 v[28:29], v[0:1], v[34:35] neg_lo:[0,1] neg_hi:[0,1]
	v_mov_b32_e32 v1, v7
	v_pk_add_f32 v[0:1], v[0:1], v[14:15] neg_lo:[0,1] neg_hi:[0,1]
	v_pk_add_f32 v[14:15], v[8:9], v[26:27] neg_lo:[0,1] neg_hi:[0,1]
	v_add_f32_e32 v7, v11, v11
	s_waitcnt lgkmcnt(0)
	v_pk_add_f32 v[10:11], v[12:13], v[20:21] neg_lo:[0,1] neg_hi:[0,1]
	v_mov_b32_e32 v49, v51
	v_fma_f32 v22, v12, 2.0, -v10
	v_fma_f32 v13, v13, 2.0, -v11
	v_mov_b32_e32 v17, v29
	v_pk_add_f32 v[30:31], v[14:15], v[10:11] op_sel:[1,0] op_sel_hi:[0,1] neg_lo:[0,1] neg_hi:[0,1]
	v_pk_add_f32 v[10:11], v[14:15], v[10:11] op_sel:[1,0] op_sel_hi:[0,1]
	v_pk_add_f32 v[26:27], v[48:49], v[52:53] neg_lo:[0,1] neg_hi:[0,1]
	v_pk_add_f32 v[16:17], v[16:17], v[0:1] neg_lo:[0,1] neg_hi:[0,1]
	v_pk_fma_f32 v[8:9], v[8:9], 2.0, v[14:15] op_sel_hi:[1,0,1] neg_lo:[0,0,1] neg_hi:[0,0,1]
	v_fma_f32 v1, v14, 2.0, -v11
	v_mul_f32_e32 v12, 0x3f3504f3, v1
	v_mov_b32_e32 v44, v26
	v_mov_b32_e32 v45, v9
	v_pk_add_f32 v[20:21], v[4:5], v[4:5]
	v_fma_f32 v4, v15, 2.0, -v30
	v_mov_b32_e32 v28, v51
	v_mov_b32_e32 v14, v27
	;; [unrolled: 1-line block ×3, first 2 shown]
	v_pk_add_f32 v[44:45], v[44:45], v[12:13] neg_lo:[0,1] neg_hi:[0,1]
	v_pk_fma_f32 v[14:15], v[28:29], 2.0, v[14:15] op_sel_hi:[1,0,1] neg_lo:[0,0,1] neg_hi:[0,0,1]
	v_sub_f32_e32 v28, v8, v22
	v_mov_b32_e32 v29, v45
	v_mov_b32_e32 v31, v11
	v_mul_f32_e32 v10, 0x3f3504f3, v4
	v_mov_b32_e32 v11, v27
	v_pk_fma_f32 v[8:9], v[8:9], 2.0, v[28:29] op_sel_hi:[1,0,1] neg_lo:[0,0,1] neg_hi:[0,0,1]
	v_mov_b32_e32 v13, v28
	v_fmamk_f32 v28, v4, 0xbf3504f3, v16
	v_mov_b32_e32 v29, v17
	v_mov_b32_e32 v1, v52
	v_pk_add_f32 v[10:11], v[10:11], v[44:45]
	v_pk_mul_f32 v[44:45], v[30:31], s[0:1] op_sel_hi:[1,0]
	v_pk_add_f32 v[12:13], v[28:29], v[12:13] neg_lo:[0,1] neg_hi:[0,1]
	v_pk_fma_f32 v[28:29], v[30:31], s[0:1], v[0:1] op_sel_hi:[1,0,1]
	v_mov_b32_e32 v35, v38
	v_pk_add_f32 v[30:31], v[28:29], v[44:45] op_sel:[0,1] op_sel_hi:[1,0] neg_lo:[0,1] neg_hi:[0,1]
	v_pk_add_f32 v[44:45], v[28:29], v[44:45] op_sel:[0,1] op_sel_hi:[1,0]
	v_pk_add_f32 v[36:37], v[32:33], v[36:37] neg_lo:[0,1] neg_hi:[0,1]
	v_mov_b32_e32 v31, v45
	v_pk_fma_f32 v[28:29], v[0:1], 2.0, v[30:31] op_sel_hi:[1,0,1] neg_lo:[0,0,1] neg_hi:[0,0,1]
	v_pk_add_f32 v[0:1], v[2:3], v[18:19] neg_lo:[0,1] neg_hi:[0,1]
	v_mov_b32_e32 v54, v5
	v_mov_b32_e32 v55, v42
	v_pk_add_f32 v[42:43], v[38:39], v[38:39]
	v_pk_add_f32 v[34:35], v[38:39], v[34:35] neg_lo:[0,1] neg_hi:[0,1]
	v_mov_b32_e32 v39, v7
	v_mov_b32_e32 v21, v41
	v_fma_f32 v22, v32, 2.0, -v36
	v_fma_f32 v33, v33, 2.0, -v37
	v_pk_add_f32 v[48:49], v[0:1], v[36:37] op_sel:[0,1] op_sel_hi:[1,0] neg_lo:[0,1] neg_hi:[0,1]
	v_pk_add_f32 v[36:37], v[0:1], v[36:37] op_sel:[0,1] op_sel_hi:[1,0]
	v_pk_add_f32 v[38:39], v[38:39], v[54:55] neg_lo:[0,1] neg_hi:[0,1]
	v_pk_add_f32 v[20:21], v[20:21], v[46:47] neg_lo:[0,1] neg_hi:[0,1]
	s_mov_b32 s1, s6
	v_mov_b32_e32 v37, v49
	v_mov_b32_e32 v43, v35
	;; [unrolled: 1-line block ×3, first 2 shown]
	v_pk_mul_f32 v[52:53], v[36:37], s[0:1] op_sel_hi:[1,0]
	v_pk_add_f32 v[42:43], v[42:43], v[38:39] neg_lo:[0,1] neg_hi:[0,1]
	v_pk_fma_f32 v[38:39], v[36:37], s[0:1], v[46:47] op_sel_hi:[1,0,1]
	v_pk_fma_f32 v[26:27], v[26:27], 2.0, v[10:11] op_sel_hi:[1,0,1] neg_lo:[0,0,1] neg_hi:[0,0,1]
	v_pk_add_f32 v[54:55], v[38:39], v[52:53] op_sel:[0,1] op_sel_hi:[1,0] neg_lo:[0,1] neg_hi:[0,1]
	v_pk_add_f32 v[52:53], v[38:39], v[52:53] op_sel:[0,1] op_sel_hi:[1,0]
	v_pk_fma_f32 v[16:17], v[16:17], 2.0, v[12:13] op_sel_hi:[1,0,1] neg_lo:[0,0,1] neg_hi:[0,0,1]
	v_mov_b32_e32 v53, v55
	v_mul_f32_e32 v23, 0x3f6c835e, v30
	v_mov_b32_e32 v34, v13
	v_mov_b32_e32 v37, v30
	;; [unrolled: 1-line block ×3, first 2 shown]
	v_pk_fma_f32 v[30:31], v[46:47], 2.0, v[52:53] op_sel_hi:[1,0,1] neg_lo:[0,0,1] neg_hi:[0,0,1]
	v_pk_add_f32 v[8:9], v[14:15], v[8:9] neg_lo:[0,1] neg_hi:[0,1]
	v_pk_mul_f32 v[18:19], v[26:27], s[2:3]
	v_pk_mul_f32 v[38:39], v[16:17], s[6:7]
	v_mul_f32_e32 v40, 0x3ec3ef15, v45
	v_pk_mul_f32 v[56:57], v[34:35], s[0:1]
	v_mov_b32_e32 v34, v31
	v_pk_mul_f32 v[58:59], v[44:45], s[8:9]
	v_pk_fma_f32 v[14:15], v[14:15], 2.0, v[8:9] op_sel_hi:[1,0,1] neg_lo:[0,0,1] neg_hi:[0,0,1]
	v_mov_b32_e32 v5, v39
	v_pk_mul_f32 v[38:39], v[28:29], s[10:11]
	v_mov_b32_e32 v18, v9
	v_fma_f32 v9, v0, 2.0, -v36
	v_pk_fma_f32 v[2:3], v[2:3], 2.0, v[0:1] op_sel_hi:[1,0,1] neg_lo:[0,0,1] neg_hi:[0,0,1]
	v_fmamk_f32 v0, v29, 0xbec3ef15, v30
	v_pk_fma_f32 v[46:47], v[28:29], s[10:11], v[34:35] neg_lo:[1,0,0] neg_hi:[1,0,0]
	v_mov_b32_e32 v59, v40
	v_mov_b32_e32 v34, v41
	;; [unrolled: 1-line block ×4, first 2 shown]
	v_fma_f32 v38, v1, 2.0, -v49
	v_mul_f32_e32 v32, 0x3f3504f3, v9
	v_fmac_f32_e32 v0, 0x3f6c835e, v28
	v_mov_b32_e32 v28, v39
	v_pk_fma_f32 v[34:35], v[34:35], 2.0, v[40:41] op_sel_hi:[1,0,1] neg_lo:[0,0,1] neg_hi:[0,0,1]
	v_mov_b32_e32 v40, v20
	v_mov_b32_e32 v41, v3
	v_pk_add_f32 v[48:49], v[46:47], v[28:29] neg_lo:[0,1] neg_hi:[0,1]
	v_mul_f32_e32 v28, 0x3f3504f3, v38
	v_mov_b32_e32 v29, v21
	v_pk_add_f32 v[40:41], v[40:41], v[32:33] neg_lo:[0,1] neg_hi:[0,1]
	v_fmamk_f32 v38, v38, 0xbf3504f3, v42
	v_pk_add_f32 v[46:47], v[28:29], v[40:41]
	v_sub_f32_e32 v40, v2, v22
	v_pk_fma_f32 v[2:3], v[2:3], 2.0, v[40:41] op_sel_hi:[1,0,1] neg_lo:[0,0,1] neg_hi:[0,0,1]
	v_pk_fma_f32 v[20:21], v[20:21], 2.0, v[46:47] op_sel_hi:[1,0,1] neg_lo:[0,0,1] neg_hi:[0,0,1]
	v_mov_b32_e32 v39, v43
	v_pk_add_f32 v[60:61], v[34:35], v[2:3] neg_lo:[0,1] neg_hi:[0,1]
	v_pk_fma_f32 v[2:3], v[26:27], s[2:3], v[20:21] neg_lo:[1,0,0] neg_hi:[1,0,0]
	v_mov_b32_e32 v33, v40
	v_mul_f32_e32 v4, 0x3f6c835e, v16
	v_pk_fma_f32 v[28:29], v[16:17], s[6:7], v[2:3]
	v_fma_f32 v2, v34, 2.0, -v60
	v_fma_f32 v3, v35, 2.0, -v61
	v_pk_add_f32 v[16:17], v[38:39], v[32:33] neg_lo:[0,1] neg_hi:[0,1]
	v_mul_f32_e32 v7, 0x3f6c835e, v10
	v_pk_fma_f32 v[34:35], v[42:43], 2.0, v[16:17] op_sel_hi:[1,0,1] neg_lo:[0,0,1] neg_hi:[0,0,1]
	v_pk_add_f32 v[40:41], v[2:3], v[14:15] neg_lo:[0,1] neg_hi:[0,1]
	v_mul_f32_e32 v50, 0x3ec3ef15, v26
	v_mov_b32_e32 v51, v19
	v_mul_f32_e32 v19, 0x3f6c835e, v12
	v_mov_b32_e32 v9, v7
	v_pk_fma_f32 v[26:27], v[2:3], 2.0, v[40:41] op_sel_hi:[1,0,1] neg_lo:[0,0,1] neg_hi:[0,0,1]
	v_pk_add_f32 v[2:3], v[34:35], v[4:5] neg_lo:[0,1] neg_hi:[0,1]
	v_fmamk_f32 v5, v10, 0x3ec3ef15, v46
	v_fmamk_f32 v11, v12, 0x3ec3ef15, v16
	v_mov_b32_e32 v4, v60
	v_mov_b32_e32 v10, v61
	v_pk_add_f32 v[42:43], v[4:5], v[18:19]
	v_pk_add_f32 v[8:9], v[10:11], v[8:9] neg_lo:[0,1] neg_hi:[0,1]
	v_mov_b32_e32 v4, v42
	v_mov_b32_e32 v5, v8
	v_pk_fma_f32 v[38:39], v[60:61], 2.0, v[4:5] op_sel_hi:[1,0,1] neg_lo:[0,0,1] neg_hi:[0,0,1]
	v_mov_b32_e32 v4, v47
	v_mov_b32_e32 v5, v52
	;; [unrolled: 1-line block ×4, first 2 shown]
	v_pk_fma_f32 v[4:5], v[44:45], s[8:9], v[4:5]
	v_mov_b32_e32 v54, v17
	v_pk_add_f32 v[2:3], v[2:3], v[50:51] neg_lo:[0,1] neg_hi:[0,1]
	v_pk_fma_f32 v[50:51], v[36:37], s[0:1], v[4:5]
	v_pk_add_f32 v[4:5], v[54:55], v[56:57]
	v_mov_b32_e32 v10, v51
	v_pk_add_f32 v[4:5], v[4:5], v[58:59] neg_lo:[0,1] neg_hi:[0,1]
	v_mov_b32_e32 v12, v28
	v_mov_b32_e32 v11, v5
	v_pk_fma_f32 v[36:37], v[52:53], 2.0, v[10:11] op_sel_hi:[1,0,1] neg_lo:[0,0,1] neg_hi:[0,0,1]
	v_mov_b32_e32 v10, v20
	v_mov_b32_e32 v11, v34
	v_mov_b32_e32 v13, v2
	v_pk_fma_f32 v[32:33], v[10:11], 2.0, v[12:13] op_sel_hi:[1,0,1] neg_lo:[0,0,1] neg_hi:[0,0,1]
	v_mov_b32_e32 v34, v21
	v_mov_b32_e32 v10, v29
	v_mov_b32_e32 v11, v3
	v_pk_fma_f32 v[34:35], v[34:35], 2.0, v[10:11] op_sel_hi:[1,0,1] neg_lo:[0,0,1] neg_hi:[0,0,1]
	v_mov_b32_e32 v10, v46
	v_mov_b32_e32 v11, v16
	v_mov_b32_e32 v12, v43
	;; [unrolled: 1-line block ×3, first 2 shown]
	v_lshl_add_u32 v7, v24, 7, 0
	v_pk_fma_f32 v[44:45], v[10:11], 2.0, v[12:13] op_sel_hi:[1,0,1] neg_lo:[0,0,1] neg_hi:[0,0,1]
	v_mov_b32_e32 v16, v47
	v_mov_b32_e32 v10, v50
	v_mov_b32_e32 v11, v4
	v_add_u32_e32 v22, v7, v6
	v_pk_fma_f32 v[46:47], v[16:17], 2.0, v[10:11] op_sel_hi:[1,0,1] neg_lo:[0,0,1] neg_hi:[0,0,1]
	v_mov_b32_e32 v10, v28
	v_mov_b32_e32 v11, v2
	s_barrier
	v_mov_b32_e32 v1, v48
	ds_write2_b64 v22, v[40:41], v[10:11] offset0:8 offset1:9
	v_mov_b32_e32 v10, v29
	v_mov_b32_e32 v11, v3
	ds_write2_b64 v22, v[10:11], v[0:1] offset0:10 offset1:11
	v_mov_b32_e32 v10, v42
	v_mov_b32_e32 v11, v8
	v_pk_fma_f32 v[30:31], v[30:31], 2.0, v[0:1] op_sel_hi:[1,0,1] neg_lo:[0,0,1] neg_hi:[0,0,1]
	ds_write2_b64 v22, v[10:11], v[12:13] offset0:12 offset1:13
	v_mov_b32_e32 v10, v50
	v_mov_b32_e32 v11, v4
	v_mov_b32_e32 v12, v51
	v_mov_b32_e32 v13, v5
	v_cmp_gt_u32_e64 s[0:1], 16, v24
	v_cmp_lt_u32_e64 s[2:3], 15, v24
	ds_write2_b64 v22, v[26:27], v[32:33] offset1:1
	ds_write2_b64 v22, v[34:35], v[30:31] offset0:2 offset1:3
	ds_write2_b64 v22, v[38:39], v[44:45] offset0:4 offset1:5
	;; [unrolled: 1-line block ×4, first 2 shown]
	s_waitcnt lgkmcnt(0)
	s_barrier
	s_and_saveexec_b64 s[6:7], s[2:3]
	s_xor_b64 s[2:3], exec, s[6:7]
; %bb.17:
                                        ; implicit-def: $vgpr7
                                        ; implicit-def: $vgpr6
; %bb.18:
	s_andn2_saveexec_b64 s[2:3], s[2:3]
	s_cbranch_execz .LBB0_20
; %bb.19:
	v_mul_i32_i24_e32 v0, 0xffffff88, v24
	v_add3_u32 v4, v7, v0, v6
	ds_read_b64 v[26:27], v64
	ds_read2_b64 v[12:15], v4 offset0:16 offset1:32
	ds_read2_b64 v[16:19], v4 offset0:48 offset1:64
	;; [unrolled: 1-line block ×7, first 2 shown]
	v_add_u32_e32 v4, 0x400, v4
	ds_read2_b64 v[4:7], v4 offset0:112 offset1:128
	s_waitcnt lgkmcnt(3)
	v_mov_b32_e32 v28, v0
	v_mov_b32_e32 v29, v2
	s_waitcnt lgkmcnt(2)
	v_mov_b32_e32 v42, v36
	s_waitcnt lgkmcnt(1)
	v_mov_b32_e32 v43, v8
	v_mov_b32_e32 v50, v10
	s_waitcnt lgkmcnt(0)
	v_mov_b32_e32 v51, v4
	v_mov_b32_e32 v2, v1
	;; [unrolled: 1-line block ×18, first 2 shown]
	v_mov_b64_e32 v[36:37], v[52:53]
	v_mov_b64_e32 v[40:41], v[54:55]
.LBB0_20:
	s_or_b64 exec, exec, s[2:3]
	s_barrier
	s_and_saveexec_b64 s[2:3], s[0:1]
	s_cbranch_execz .LBB0_22
; %bb.21:
	v_lshlrev_b32_e32 v1, 4, v24
	v_and_b32_e32 v1, 0xf0, v1
	v_lshlrev_b32_e32 v1, 3, v1
	global_load_dwordx4 v[14:17], v1, s[4:5] offset:48
	global_load_dwordx4 v[18:21], v1, s[4:5] offset:32
	;; [unrolled: 1-line block ×3, first 2 shown]
	global_load_dwordx4 v[10:13], v1, s[4:5]
	global_load_dwordx4 v[54:57], v1, s[4:5] offset:112
	global_load_dwordx4 v[58:61], v1, s[4:5] offset:96
	;; [unrolled: 1-line block ×4, first 2 shown]
	v_mov_b32_e32 v52, v33
	v_mov_b32_e32 v22, v62
	v_mov_b32_e32 v62, v35
	v_mov_b32_e32 v82, v31
	v_mov_b32_e32 v84, v39
	v_mov_b32_e32 v88, v45
	v_mov_b32_e32 v90, v47
	s_mov_b32 s26, 0xbeb8f4ab
	s_mov_b32 s10, 0x3f6eb680
	;; [unrolled: 1-line block ×22, first 2 shown]
	s_waitcnt vmcnt(7)
	v_pk_mul_f32 v[98:99], v[40:41], v[16:17] op_sel:[1,0]
	s_waitcnt vmcnt(6)
	v_pk_mul_f32 v[88:89], v[88:89], v[18:19] op_sel_hi:[0,1]
	s_waitcnt vmcnt(5)
	v_pk_mul_f32 v[82:83], v[82:83], v[66:67] op_sel_hi:[0,1]
	;; [unrolled: 2-line block ×3, first 2 shown]
	v_mov_b32_e32 v52, v7
	s_waitcnt vmcnt(3)
	v_pk_mul_f32 v[52:53], v[52:53], v[56:57] op_sel_hi:[0,1]
	v_pk_mul_f32 v[80:81], v[62:63], v[12:13] op_sel_hi:[0,1]
	v_pk_mul_f32 v[62:63], v[4:5], v[54:55] op_sel:[1,0]
	s_waitcnt vmcnt(2)
	v_pk_mul_f32 v[4:5], v[4:5], v[60:61] op_sel_hi:[0,1]
	s_waitcnt vmcnt(1)
	v_pk_mul_f32 v[92:93], v[48:49], v[70:71] op_sel_hi:[0,1]
	v_pk_fma_f32 v[48:49], v[6:7], v[56:57], v[52:53] op_sel:[0,0,1] op_sel_hi:[1,1,0]
	v_pk_fma_f32 v[6:7], v[6:7], v[56:57], v[52:53] op_sel:[0,0,1] op_sel_hi:[0,1,0] neg_lo:[1,0,0] neg_hi:[1,0,0]
	v_pk_mul_f32 v[86:87], v[8:9], v[58:59] op_sel:[1,0]
	v_mov_b32_e32 v49, v7
	v_pk_fma_f32 v[52:53], v[50:51], v[54:55], v[62:63] op_sel:[1,0,1] op_sel_hi:[1,1,0]
	v_pk_fma_f32 v[6:7], v[50:51], v[54:55], v[62:63] op_sel:[1,0,1] op_sel_hi:[1,1,0] neg_lo:[1,0,0] neg_hi:[1,0,0]
	v_pk_fma_f32 v[54:55], v[50:51], v[60:61], v[4:5] op_sel:[0,0,1] op_sel_hi:[1,1,0]
	v_pk_fma_f32 v[4:5], v[50:51], v[60:61], v[4:5] op_sel:[0,0,1] op_sel_hi:[0,1,0] neg_lo:[1,0,0] neg_hi:[1,0,0]
	v_pk_mul_f32 v[8:9], v[8:9], v[72:73] op_sel_hi:[0,1]
	v_mov_b32_e32 v55, v5
	v_pk_fma_f32 v[50:51], v[42:43], v[58:59], v[86:87] op_sel:[1,0,1] op_sel_hi:[1,1,0]
	v_pk_fma_f32 v[4:5], v[42:43], v[58:59], v[86:87] op_sel:[1,0,1] op_sel_hi:[1,1,0] neg_lo:[1,0,0] neg_hi:[1,0,0]
	s_waitcnt vmcnt(0)
	v_pk_mul_f32 v[96:97], v[2:3], v[76:77] op_sel:[1,0]
	v_mov_b32_e32 v51, v5
	v_pk_fma_f32 v[56:57], v[42:43], v[72:73], v[8:9] op_sel:[0,0,1] op_sel_hi:[1,1,0]
	v_pk_fma_f32 v[4:5], v[42:43], v[72:73], v[8:9] op_sel:[0,0,1] op_sel_hi:[0,1,0] neg_lo:[1,0,0] neg_hi:[1,0,0]
	v_pk_fma_f32 v[42:43], v[0:1], v[70:71], v[92:93] op_sel:[0,0,1] op_sel_hi:[1,1,0]
	v_pk_fma_f32 v[0:1], v[0:1], v[70:71], v[92:93] op_sel:[0,0,1] op_sel_hi:[0,1,0] neg_lo:[1,0,0] neg_hi:[1,0,0]
	v_pk_mul_f32 v[2:3], v[2:3], v[74:75] op_sel_hi:[0,1]
	v_mov_b32_e32 v43, v1
	v_pk_fma_f32 v[58:59], v[28:29], v[76:77], v[96:97] op_sel:[1,0,1] op_sel_hi:[1,1,0]
	v_pk_fma_f32 v[0:1], v[28:29], v[76:77], v[96:97] op_sel:[1,0,1] op_sel_hi:[1,1,0] neg_lo:[1,0,0] neg_hi:[1,0,0]
	v_pk_fma_f32 v[60:61], v[28:29], v[74:75], v[2:3] op_sel:[0,0,1] op_sel_hi:[1,1,0]
	v_mov_b32_e32 v59, v1
	v_pk_fma_f32 v[0:1], v[28:29], v[74:75], v[2:3] op_sel:[0,0,1] op_sel_hi:[0,1,0] neg_lo:[1,0,0] neg_hi:[1,0,0]
	v_mov_b32_e32 v61, v1
	v_pk_fma_f32 v[62:63], v[40:41], v[16:17], v[98:99] op_sel:[0,0,1] op_sel_hi:[1,1,0]
	v_pk_fma_f32 v[0:1], v[40:41], v[16:17], v[98:99] op_sel:[0,0,1] op_sel_hi:[0,1,0] neg_lo:[1,0,0] neg_hi:[1,0,0]
	v_pk_mul_f32 v[84:85], v[84:85], v[68:69] op_sel_hi:[0,1]
	v_mov_b32_e32 v63, v1
	v_pk_fma_f32 v[0:1], v[30:31], v[66:67], v[82:83] op_sel:[0,0,1] op_sel_hi:[1,1,0]
	v_pk_fma_f32 v[2:3], v[30:31], v[66:67], v[82:83] op_sel:[0,0,1] op_sel_hi:[0,1,0] neg_lo:[1,0,0] neg_hi:[1,0,0]
	v_mov_b32_e32 v57, v5
	v_mov_b32_e32 v1, v3
	v_pk_fma_f32 v[2:3], v[38:39], v[68:69], v[84:85] op_sel:[0,0,1] op_sel_hi:[1,1,0]
	v_pk_fma_f32 v[4:5], v[38:39], v[68:69], v[84:85] op_sel:[0,0,1] op_sel_hi:[0,1,0] neg_lo:[1,0,0] neg_hi:[1,0,0]
	v_pk_mul_f32 v[90:91], v[90:91], v[20:21] op_sel_hi:[0,1]
	v_mov_b32_e32 v53, v7
	v_mov_b32_e32 v3, v5
	v_pk_fma_f32 v[4:5], v[44:45], v[18:19], v[88:89] op_sel:[0,0,1] op_sel_hi:[1,1,0]
	v_pk_fma_f32 v[6:7], v[44:45], v[18:19], v[88:89] op_sel:[0,0,1] op_sel_hi:[0,1,0] neg_lo:[1,0,0] neg_hi:[1,0,0]
	v_pk_mul_f32 v[94:95], v[36:37], v[14:15] op_sel:[1,0]
	v_mov_b32_e32 v5, v7
	v_pk_fma_f32 v[38:39], v[46:47], v[20:21], v[90:91] op_sel:[0,0,1] op_sel_hi:[1,1,0]
	v_pk_fma_f32 v[6:7], v[46:47], v[20:21], v[90:91] op_sel:[0,0,1] op_sel_hi:[0,1,0] neg_lo:[1,0,0] neg_hi:[1,0,0]
	v_mov_b32_e32 v39, v7
	v_pk_fma_f32 v[40:41], v[36:37], v[14:15], v[94:95] op_sel:[0,0,1] op_sel_hi:[1,1,0]
	v_pk_fma_f32 v[6:7], v[36:37], v[14:15], v[94:95] op_sel:[0,0,1] op_sel_hi:[0,1,0] neg_lo:[1,0,0] neg_hi:[1,0,0]
	v_mov_b32_e32 v41, v7
	v_pk_fma_f32 v[6:7], v[32:33], v[10:11], v[78:79] op_sel:[0,0,1] op_sel_hi:[1,1,0]
	v_pk_fma_f32 v[8:9], v[32:33], v[10:11], v[78:79] op_sel:[0,0,1] op_sel_hi:[0,1,0] neg_lo:[1,0,0] neg_hi:[1,0,0]
	v_mov_b32_e32 v7, v9
	v_pk_fma_f32 v[8:9], v[34:35], v[12:13], v[80:81] op_sel:[0,0,1] op_sel_hi:[1,1,0]
	v_pk_fma_f32 v[10:11], v[34:35], v[12:13], v[80:81] op_sel:[0,0,1] op_sel_hi:[0,1,0] neg_lo:[1,0,0] neg_hi:[1,0,0]
	v_mov_b32_e32 v9, v11
	v_pk_add_f32 v[10:11], v[26:27], v[6:7]
	v_pk_add_f32 v[118:119], v[6:7], v[48:49] neg_lo:[0,1] neg_hi:[0,1]
	v_pk_add_f32 v[10:11], v[10:11], v[8:9]
	v_pk_add_f32 v[96:97], v[6:7], v[48:49]
	;; [unrolled: 1-line block ×3, first 2 shown]
	v_pk_add_f32 v[120:121], v[8:9], v[52:53] neg_lo:[0,1] neg_hi:[0,1]
	v_pk_add_f32 v[10:11], v[10:11], v[2:3]
	v_pk_add_f32 v[124:125], v[2:3], v[50:51] neg_lo:[0,1] neg_hi:[0,1]
	v_pk_add_f32 v[78:79], v[2:3], v[50:51]
	v_pk_mul_f32 v[2:3], v[118:119], s[26:27] op_sel_hi:[1,0]
	v_pk_add_f32 v[44:45], v[10:11], v[4:5]
	v_pk_add_f32 v[82:83], v[8:9], v[52:53]
	v_pk_add_f32 v[122:123], v[0:1], v[54:55] neg_lo:[0,1] neg_hi:[0,1]
	v_pk_add_f32 v[80:81], v[0:1], v[54:55]
	v_pk_add_f32 v[126:127], v[4:5], v[56:57] neg_lo:[0,1] neg_hi:[0,1]
	v_pk_add_f32 v[76:77], v[4:5], v[56:57]
	v_pk_fma_f32 v[4:5], v[96:97], s[10:11], v[2:3] op_sel:[0,0,1] op_sel_hi:[1,0,0]
	v_pk_fma_f32 v[0:1], v[96:97], s[10:11], v[2:3] op_sel:[0,0,1] op_sel_hi:[1,0,0] neg_lo:[0,0,1] neg_hi:[0,0,1]
	v_pk_mul_f32 v[6:7], v[120:121], s[36:37] op_sel_hi:[1,0]
	v_accvgpr_write_b32 a1, v5
	v_mov_b32_e32 v5, v1
	v_accvgpr_write_b32 a0, v0
	v_pk_fma_f32 v[10:11], v[82:83], s[6:7], v[6:7] op_sel:[0,0,1] op_sel_hi:[1,0,0]
	v_pk_fma_f32 v[0:1], v[82:83], s[6:7], v[6:7] op_sel:[0,0,1] op_sel_hi:[1,0,0] neg_lo:[0,0,1] neg_hi:[0,0,1]
	v_pk_add_f32 v[8:9], v[26:27], v[4:5]
	v_accvgpr_write_b32 a3, v11
	v_mov_b32_e32 v11, v1
	v_pk_add_f32 v[12:13], v[10:11], v[8:9]
	v_pk_mul_f32 v[10:11], v[122:123], s[40:41] op_sel_hi:[1,0]
	v_pk_add_f32 v[128:129], v[38:39], v[42:43] neg_lo:[0,1] neg_hi:[0,1]
	v_pk_fma_f32 v[14:15], v[80:81], s[4:5], v[10:11] op_sel:[0,0,1] op_sel_hi:[1,0,0]
	v_pk_fma_f32 v[10:11], v[80:81], s[4:5], v[10:11] op_sel:[0,0,1] op_sel_hi:[1,0,0] neg_lo:[0,0,1] neg_hi:[0,0,1]
	v_accvgpr_write_b32 a5, v15
	v_mov_b32_e32 v15, v11
	v_pk_add_f32 v[16:17], v[14:15], v[12:13]
	v_pk_mul_f32 v[14:15], v[124:125], s[28:29] op_sel_hi:[1,0]
	v_pk_add_f32 v[74:75], v[38:39], v[42:43]
	v_pk_fma_f32 v[18:19], v[78:79], s[0:1], v[14:15] op_sel:[0,0,1] op_sel_hi:[1,0,0]
	v_pk_fma_f32 v[14:15], v[78:79], s[0:1], v[14:15] op_sel:[0,0,1] op_sel_hi:[1,0,0] neg_lo:[0,0,1] neg_hi:[0,0,1]
	v_accvgpr_write_b32 a7, v19
	v_mov_b32_e32 v19, v15
	v_pk_add_f32 v[38:39], v[44:45], v[38:39]
	v_pk_add_f32 v[20:21], v[18:19], v[16:17]
	v_pk_mul_f32 v[18:19], v[126:127], s[16:17] op_sel_hi:[1,0]
	v_pk_add_f32 v[38:39], v[38:39], v[40:41]
	v_pk_fma_f32 v[16:17], v[76:77], s[8:9], v[18:19] op_sel:[0,0,1] op_sel_hi:[1,0,0]
	v_pk_fma_f32 v[18:19], v[76:77], s[8:9], v[18:19] op_sel:[0,0,1] op_sel_hi:[1,0,0] neg_lo:[0,0,1] neg_hi:[0,0,1]
	v_pk_add_f32 v[38:39], v[38:39], v[62:63]
	v_mov_b32_e32 v28, v16
	v_mov_b32_e32 v29, v19
	v_pk_add_f32 v[38:39], v[38:39], v[60:61]
	v_pk_add_f32 v[30:31], v[28:29], v[20:21]
	v_pk_mul_f32 v[28:29], v[128:129], s[20:21] op_sel_hi:[1,0]
	v_pk_add_f32 v[38:39], v[38:39], v[58:59]
	v_pk_fma_f32 v[20:21], v[74:75], s[12:13], v[28:29] op_sel:[0,0,1] op_sel_hi:[1,0,0]
	v_pk_fma_f32 v[28:29], v[74:75], s[12:13], v[28:29] op_sel:[0,0,1] op_sel_hi:[1,0,0] neg_lo:[0,0,1] neg_hi:[0,0,1]
	v_pk_add_f32 v[38:39], v[38:39], v[42:43]
	v_pk_add_f32 v[130:131], v[40:41], v[58:59] neg_lo:[0,1] neg_hi:[0,1]
	v_mov_b32_e32 v32, v20
	v_mov_b32_e32 v33, v29
	v_pk_add_f32 v[38:39], v[38:39], v[56:57]
	v_pk_add_f32 v[72:73], v[40:41], v[58:59]
	;; [unrolled: 1-line block ×3, first 2 shown]
	v_pk_mul_f32 v[32:33], v[130:131], s[22:23] op_sel_hi:[1,0]
	v_pk_add_f32 v[38:39], v[38:39], v[50:51]
	v_pk_fma_f32 v[30:31], v[72:73], s[14:15], v[32:33] op_sel:[0,0,1] op_sel_hi:[1,0,0]
	v_pk_fma_f32 v[32:33], v[72:73], s[14:15], v[32:33] op_sel:[0,0,1] op_sel_hi:[1,0,0] neg_lo:[0,0,1] neg_hi:[0,0,1]
	v_pk_add_f32 v[38:39], v[38:39], v[54:55]
	v_pk_add_f32 v[132:133], v[62:63], v[60:61] neg_lo:[0,1] neg_hi:[0,1]
	v_mov_b32_e32 v36, v30
	v_mov_b32_e32 v37, v33
	v_pk_add_f32 v[38:39], v[38:39], v[52:53]
	v_pk_add_f32 v[70:71], v[62:63], v[60:61]
	;; [unrolled: 1-line block ×3, first 2 shown]
	v_pk_mul_f32 v[36:37], v[132:133], s[24:25] op_sel_hi:[1,0]
	v_pk_add_f32 v[38:39], v[38:39], v[48:49]
	v_pk_mul_f32 v[40:41], v[118:119], s[36:37] op_sel_hi:[1,0]
	v_pk_fma_f32 v[34:35], v[70:71], s[18:19], v[36:37] op_sel:[0,0,1] op_sel_hi:[1,0,0]
	v_pk_fma_f32 v[36:37], v[70:71], s[18:19], v[36:37] op_sel:[0,0,1] op_sel_hi:[1,0,0] neg_lo:[0,0,1] neg_hi:[0,0,1]
	ds_write_b64 v64, v[38:39]
	v_pk_fma_f32 v[38:39], v[96:97], s[6:7], v[40:41] op_sel:[0,0,1] op_sel_hi:[1,0,0]
	v_pk_fma_f32 v[40:41], v[96:97], s[6:7], v[40:41] op_sel:[0,0,1] op_sel_hi:[1,0,0] neg_lo:[0,0,1] neg_hi:[0,0,1]
	v_mov_b32_e32 v66, v34
	v_mov_b32_e32 v67, v37
	;; [unrolled: 1-line block ×4, first 2 shown]
	v_pk_add_f32 v[84:85], v[66:67], v[46:47]
	v_pk_add_f32 v[46:47], v[26:27], v[42:43]
	v_pk_mul_f32 v[42:43], v[120:121], s[28:29] op_sel_hi:[1,0]
	v_pk_mul_f32 v[94:95], v[122:123], s[38:39] op_sel_hi:[1,0]
	v_pk_fma_f32 v[44:45], v[82:83], s[0:1], v[42:43] op_sel:[0,0,1] op_sel_hi:[1,0,0]
	v_pk_fma_f32 v[42:43], v[82:83], s[0:1], v[42:43] op_sel:[0,0,1] op_sel_hi:[1,0,0] neg_lo:[0,0,1] neg_hi:[0,0,1]
	v_mov_b32_e32 v48, v44
	v_mov_b32_e32 v49, v43
	v_pk_add_f32 v[50:51], v[48:49], v[46:47]
	v_pk_mul_f32 v[48:49], v[122:123], s[20:21] op_sel_hi:[1,0]
	v_pk_mul_f32 v[100:101], v[124:125], s[42:43] op_sel_hi:[1,0]
	v_pk_fma_f32 v[46:47], v[80:81], s[12:13], v[48:49] op_sel:[0,0,1] op_sel_hi:[1,0,0]
	v_pk_fma_f32 v[48:49], v[80:81], s[12:13], v[48:49] op_sel:[0,0,1] op_sel_hi:[1,0,0] neg_lo:[0,0,1] neg_hi:[0,0,1]
	v_mov_b32_e32 v52, v46
	v_mov_b32_e32 v53, v49
	v_pk_add_f32 v[54:55], v[52:53], v[50:51]
	v_pk_mul_f32 v[52:53], v[124:125], s[24:25] op_sel_hi:[1,0]
	s_mov_b32 s38, 0x3f2c7751
	v_pk_fma_f32 v[50:51], v[78:79], s[18:19], v[52:53] op_sel:[0,0,1] op_sel_hi:[1,0,0]
	v_pk_fma_f32 v[52:53], v[78:79], s[18:19], v[52:53] op_sel:[0,0,1] op_sel_hi:[1,0,0] neg_lo:[0,0,1] neg_hi:[0,0,1]
	v_mov_b32_e32 v56, v50
	v_mov_b32_e32 v57, v53
	v_pk_add_f32 v[58:59], v[56:57], v[54:55]
	v_pk_mul_f32 v[56:57], v[126:127], s[46:47] op_sel_hi:[1,0]
	v_pk_mul_f32 v[104:105], v[126:127], s[38:39] op_sel_hi:[1,0]
	v_pk_fma_f32 v[54:55], v[76:77], s[14:15], v[56:57] op_sel:[0,0,1] op_sel_hi:[1,0,0]
	v_pk_fma_f32 v[56:57], v[76:77], s[14:15], v[56:57] op_sel:[0,0,1] op_sel_hi:[1,0,0] neg_lo:[0,0,1] neg_hi:[0,0,1]
	v_mov_b32_e32 v60, v54
	v_mov_b32_e32 v61, v57
	v_pk_add_f32 v[62:63], v[60:61], v[58:59]
	v_pk_mul_f32 v[60:61], v[128:129], s[42:43] op_sel_hi:[1,0]
	v_pk_mul_f32 v[108:109], v[128:129], s[26:27] op_sel_hi:[1,0]
	;; [unrolled: 7-line block ×4, first 2 shown]
	v_pk_fma_f32 v[66:67], v[70:71], s[10:11], v[68:69] op_sel:[0,0,1] op_sel_hi:[1,0,0]
	v_pk_fma_f32 v[68:69], v[70:71], s[10:11], v[68:69] op_sel:[0,0,1] op_sel_hi:[1,0,0] neg_lo:[0,0,1] neg_hi:[0,0,1]
	v_mov_b32_e32 v88, v66
	v_mov_b32_e32 v89, v69
	v_pk_add_f32 v[86:87], v[88:89], v[86:87]
	ds_write2_b64 v25, v[84:85], v[86:87] offset0:16 offset1:32
	v_pk_mul_f32 v[86:87], v[118:119], s[40:41] op_sel_hi:[1,0]
	v_pk_mul_f32 v[88:89], v[120:121], s[20:21] op_sel_hi:[1,0]
	v_pk_fma_f32 v[84:85], v[96:97], s[4:5], v[86:87] op_sel:[0,0,1] op_sel_hi:[1,0,0]
	v_pk_fma_f32 v[86:87], v[96:97], s[4:5], v[86:87] op_sel:[0,0,1] op_sel_hi:[1,0,0] neg_lo:[0,0,1] neg_hi:[0,0,1]
	v_mov_b32_e32 v90, v84
	v_mov_b32_e32 v91, v87
	v_pk_add_f32 v[92:93], v[26:27], v[90:91]
	v_pk_fma_f32 v[90:91], v[82:83], s[12:13], v[88:89] op_sel:[0,0,1] op_sel_hi:[1,0,0]
	v_pk_fma_f32 v[88:89], v[82:83], s[12:13], v[88:89] op_sel:[0,0,1] op_sel_hi:[1,0,0] neg_lo:[0,0,1] neg_hi:[0,0,1]
	v_mov_b32_e32 v98, v90
	v_mov_b32_e32 v99, v89
	v_pk_add_f32 v[98:99], v[98:99], v[92:93]
	;; [unrolled: 5-line block ×8, first 2 shown]
	v_pk_mul_f32 v[136:137], v[118:119], s[28:29] op_sel_hi:[1,0]
	v_pk_mul_f32 v[138:139], v[120:121], s[24:25] op_sel_hi:[1,0]
	v_pk_fma_f32 v[134:135], v[96:97], s[0:1], v[136:137] op_sel:[0,0,1] op_sel_hi:[1,0,0]
	v_pk_fma_f32 v[136:137], v[96:97], s[0:1], v[136:137] op_sel:[0,0,1] op_sel_hi:[1,0,0] neg_lo:[0,0,1] neg_hi:[0,0,1]
	v_mov_b32_e32 v140, v134
	v_mov_b32_e32 v141, v137
	v_pk_add_f32 v[142:143], v[26:27], v[140:141]
	v_pk_fma_f32 v[140:141], v[82:83], s[18:19], v[138:139] op_sel:[0,0,1] op_sel_hi:[1,0,0]
	v_pk_fma_f32 v[138:139], v[82:83], s[18:19], v[138:139] op_sel:[0,0,1] op_sel_hi:[1,0,0] neg_lo:[0,0,1] neg_hi:[0,0,1]
	v_pk_mul_f32 v[144:145], v[122:123], s[42:43] op_sel_hi:[1,0]
	v_mov_b32_e32 v146, v140
	v_mov_b32_e32 v147, v139
	v_pk_add_f32 v[146:147], v[146:147], v[142:143]
	v_pk_fma_f32 v[142:143], v[80:81], s[8:9], v[144:145] op_sel:[0,0,1] op_sel_hi:[1,0,0]
	v_pk_fma_f32 v[144:145], v[80:81], s[8:9], v[144:145] op_sel:[0,0,1] op_sel_hi:[1,0,0] neg_lo:[0,0,1] neg_hi:[0,0,1]
	v_pk_mul_f32 v[148:149], v[124:125], s[34:35] op_sel_hi:[1,0]
	;; [unrolled: 6-line block ×6, first 2 shown]
	v_mov_b32_e32 v168, v158
	v_mov_b32_e32 v169, v161
	v_pk_add_f32 v[168:169], v[168:169], v[162:163]
	v_pk_fma_f32 v[162:163], v[70:71], s[6:7], v[164:165] op_sel:[0,0,1] op_sel_hi:[1,0,0]
	v_pk_fma_f32 v[164:165], v[70:71], s[6:7], v[164:165] op_sel:[0,0,1] op_sel_hi:[1,0,0] neg_lo:[0,0,1] neg_hi:[0,0,1]
	v_mov_b32_e32 v170, v162
	v_mov_b32_e32 v171, v165
	v_pk_add_f32 v[168:169], v[170:171], v[168:169]
	ds_write2_b64 v25, v[166:167], v[168:169] offset0:48 offset1:64
	v_pk_mul_f32 v[166:167], v[118:119], s[16:17] op_sel_hi:[1,0]
	v_pk_mul_f32 v[174:175], v[120:121], s[46:47] op_sel_hi:[1,0]
	v_pk_fma_f32 v[168:169], v[96:97], s[8:9], v[166:167] op_sel:[0,0,1] op_sel_hi:[1,0,0]
	v_pk_fma_f32 v[170:171], v[96:97], s[8:9], v[166:167] op_sel:[0,0,1] op_sel_hi:[1,0,0] neg_lo:[0,0,1] neg_hi:[0,0,1]
	v_mov_b32_e32 v166, v168
	v_mov_b32_e32 v167, v171
	v_pk_add_f32 v[178:179], v[26:27], v[166:167]
	v_pk_fma_f32 v[12:13], v[82:83], s[14:15], v[174:175] op_sel:[0,0,1] op_sel_hi:[1,0,0]
	v_pk_fma_f32 v[166:167], v[82:83], s[14:15], v[174:175] op_sel:[0,0,1] op_sel_hi:[1,0,0] neg_lo:[0,0,1] neg_hi:[0,0,1]
	v_pk_mul_f32 v[176:177], v[122:123], s[38:39] op_sel_hi:[1,0]
	v_mov_b32_e32 v174, v12
	v_mov_b32_e32 v175, v167
	v_pk_add_f32 v[178:179], v[174:175], v[178:179]
	v_pk_fma_f32 v[174:175], v[80:81], s[6:7], v[176:177] op_sel:[0,0,1] op_sel_hi:[1,0,0]
	v_pk_fma_f32 v[176:177], v[80:81], s[6:7], v[176:177] op_sel:[0,0,1] op_sel_hi:[1,0,0] neg_lo:[0,0,1] neg_hi:[0,0,1]
	v_pk_mul_f32 v[180:181], v[124:125], s[40:41] op_sel_hi:[1,0]
	;; [unrolled: 6-line block ×3, first 2 shown]
	v_mov_b32_e32 v186, v178
	v_mov_b32_e32 v187, v181
	s_mov_b32 s40, 0x3f7ee86f
	v_pk_add_f32 v[186:187], v[186:187], v[182:183]
	v_pk_fma_f32 v[182:183], v[76:77], s[18:19], v[184:185] op_sel:[0,0,1] op_sel_hi:[1,0,0]
	v_pk_fma_f32 v[184:185], v[76:77], s[18:19], v[184:185] op_sel:[0,0,1] op_sel_hi:[1,0,0] neg_lo:[0,0,1] neg_hi:[0,0,1]
	v_pk_mul_f32 v[188:189], v[128:129], s[40:41] op_sel_hi:[1,0]
	v_mov_b32_e32 v190, v182
	v_mov_b32_e32 v191, v185
	v_pk_add_f32 v[190:191], v[190:191], v[186:187]
	v_pk_fma_f32 v[186:187], v[74:75], s[0:1], v[188:189] op_sel:[0,0,1] op_sel_hi:[1,0,0]
	v_pk_fma_f32 v[188:189], v[74:75], s[0:1], v[188:189] op_sel:[0,0,1] op_sel_hi:[1,0,0] neg_lo:[0,0,1] neg_hi:[0,0,1]
	v_pk_mul_f32 v[192:193], v[130:131], s[26:27] op_sel_hi:[1,0]
	v_mov_b32_e32 v194, v186
	v_mov_b32_e32 v195, v189
	;; [unrolled: 6-line block ×3, first 2 shown]
	v_pk_add_f32 v[198:199], v[198:199], v[194:195]
	v_pk_fma_f32 v[194:195], v[70:71], s[12:13], v[196:197] op_sel:[0,0,1] op_sel_hi:[1,0,0]
	v_pk_fma_f32 v[196:197], v[70:71], s[12:13], v[196:197] op_sel:[0,0,1] op_sel_hi:[1,0,0] neg_lo:[0,0,1] neg_hi:[0,0,1]
	v_mov_b32_e32 v200, v194
	v_mov_b32_e32 v201, v197
	v_pk_add_f32 v[232:233], v[200:201], v[198:199]
	v_pk_mul_f32 v[198:199], v[118:119], s[20:21] op_sel_hi:[1,0]
	v_pk_mul_f32 v[206:207], v[120:121], s[42:43] op_sel_hi:[1,0]
	v_pk_fma_f32 v[200:201], v[96:97], s[12:13], v[198:199] op_sel:[0,0,1] op_sel_hi:[1,0,0]
	v_pk_fma_f32 v[202:203], v[96:97], s[12:13], v[198:199] op_sel:[0,0,1] op_sel_hi:[1,0,0] neg_lo:[0,0,1] neg_hi:[0,0,1]
	v_mov_b32_e32 v198, v200
	v_mov_b32_e32 v199, v203
	v_pk_add_f32 v[210:211], v[26:27], v[198:199]
	v_pk_fma_f32 v[8:9], v[82:83], s[8:9], v[206:207] op_sel:[0,0,1] op_sel_hi:[1,0,0]
	v_pk_fma_f32 v[198:199], v[82:83], s[8:9], v[206:207] op_sel:[0,0,1] op_sel_hi:[1,0,0] neg_lo:[0,0,1] neg_hi:[0,0,1]
	v_pk_mul_f32 v[208:209], v[122:123], s[26:27] op_sel_hi:[1,0]
	v_mov_b32_e32 v206, v8
	v_mov_b32_e32 v207, v199
	v_pk_add_f32 v[210:211], v[206:207], v[210:211]
	v_pk_fma_f32 v[206:207], v[80:81], s[10:11], v[208:209] op_sel:[0,0,1] op_sel_hi:[1,0,0]
	v_pk_fma_f32 v[208:209], v[80:81], s[10:11], v[208:209] op_sel:[0,0,1] op_sel_hi:[1,0,0] neg_lo:[0,0,1] neg_hi:[0,0,1]
	v_pk_mul_f32 v[212:213], v[124:125], s[22:23] op_sel_hi:[1,0]
	;; [unrolled: 6-line block ×6, first 2 shown]
	v_mov_b32_e32 v234, v222
	v_mov_b32_e32 v235, v225
	v_pk_add_f32 v[234:235], v[234:235], v[226:227]
	v_pk_fma_f32 v[226:227], v[70:71], s[4:5], v[228:229] op_sel:[0,0,1] op_sel_hi:[1,0,0]
	v_pk_fma_f32 v[228:229], v[70:71], s[4:5], v[228:229] op_sel:[0,0,1] op_sel_hi:[1,0,0] neg_lo:[0,0,1] neg_hi:[0,0,1]
	v_mov_b32_e32 v236, v226
	v_mov_b32_e32 v237, v229
	v_pk_add_f32 v[234:235], v[236:237], v[234:235]
	ds_write2_b64 v25, v[232:233], v[234:235] offset0:80 offset1:96
	v_pk_mul_f32 v[232:233], v[118:119], s[22:23] op_sel_hi:[1,0]
	v_pk_mul_f32 v[234:235], v[120:121], s[30:31] op_sel_hi:[1,0]
	v_pk_fma_f32 v[6:7], v[96:97], s[14:15], v[232:233] op_sel:[0,0,1] op_sel_hi:[1,0,0]
	v_pk_fma_f32 v[232:233], v[96:97], s[14:15], v[232:233] op_sel:[0,0,1] op_sel_hi:[1,0,0] neg_lo:[0,0,1] neg_hi:[0,0,1]
	v_pk_mul_f32 v[236:237], v[122:123], s[28:29] op_sel_hi:[1,0]
	v_mov_b32_e32 v250, v6
	v_mov_b32_e32 v251, v233
	v_pk_fma_f32 v[4:5], v[82:83], s[4:5], v[234:235] op_sel:[0,0,1] op_sel_hi:[1,0,0]
	v_pk_fma_f32 v[234:235], v[82:83], s[4:5], v[234:235] op_sel:[0,0,1] op_sel_hi:[1,0,0] neg_lo:[0,0,1] neg_hi:[0,0,1]
	v_pk_mul_f32 v[238:239], v[124:125], s[44:45] op_sel_hi:[1,0]
	v_pk_add_f32 v[250:251], v[26:27], v[250:251]
	v_mov_b32_e32 v254, v4
	v_mov_b32_e32 v255, v235
	v_pk_fma_f32 v[2:3], v[80:81], s[0:1], v[236:237] op_sel:[0,0,1] op_sel_hi:[1,0,0]
	v_pk_fma_f32 v[236:237], v[80:81], s[0:1], v[236:237] op_sel:[0,0,1] op_sel_hi:[1,0,0] neg_lo:[0,0,1] neg_hi:[0,0,1]
	v_pk_mul_f32 v[240:241], v[126:127], s[26:27] op_sel_hi:[1,0]
	v_pk_add_f32 v[250:251], v[254:255], v[250:251]
	v_mov_b32_e32 v254, v2
	v_mov_b32_e32 v255, v237
	v_pk_fma_f32 v[230:231], v[78:79], s[12:13], v[238:239] op_sel:[0,0,1] op_sel_hi:[1,0,0]
	v_pk_fma_f32 v[238:239], v[78:79], s[12:13], v[238:239] op_sel:[0,0,1] op_sel_hi:[1,0,0] neg_lo:[0,0,1] neg_hi:[0,0,1]
	v_accvgpr_write_b32 a2, v0
	v_pk_mul_f32 v[242:243], v[128:129], s[24:25] op_sel_hi:[1,0]
	v_pk_add_f32 v[250:251], v[254:255], v[250:251]
	v_mov_b32_e32 v254, v230
	v_mov_b32_e32 v255, v239
	v_pk_fma_f32 v[0:1], v[76:77], s[10:11], v[240:241] op_sel:[0,0,1] op_sel_hi:[1,0,0]
	v_pk_fma_f32 v[240:241], v[76:77], s[10:11], v[240:241] op_sel:[0,0,1] op_sel_hi:[1,0,0] neg_lo:[0,0,1] neg_hi:[0,0,1]
	v_mov_b32_e32 v62, v22
	v_pk_mul_f32 v[244:245], v[130:131], s[38:39] op_sel_hi:[1,0]
	v_pk_add_f32 v[250:251], v[254:255], v[250:251]
	v_mov_b32_e32 v254, v0
	v_mov_b32_e32 v255, v241
	v_pk_fma_f32 v[22:23], v[74:75], s[18:19], v[242:243] op_sel:[0,0,1] op_sel_hi:[1,0,0]
	v_pk_fma_f32 v[242:243], v[74:75], s[18:19], v[242:243] op_sel:[0,0,1] op_sel_hi:[1,0,0] neg_lo:[0,0,1] neg_hi:[0,0,1]
	v_pk_mul_f32 v[246:247], v[132:133], s[16:17] op_sel_hi:[1,0]
	v_pk_add_f32 v[250:251], v[254:255], v[250:251]
	v_mov_b32_e32 v254, v22
	v_mov_b32_e32 v255, v243
	v_pk_fma_f32 v[204:205], v[72:73], s[6:7], v[244:245] op_sel:[0,0,1] op_sel_hi:[1,0,0]
	v_pk_fma_f32 v[244:245], v[72:73], s[6:7], v[244:245] op_sel:[0,0,1] op_sel_hi:[1,0,0] neg_lo:[0,0,1] neg_hi:[0,0,1]
	v_pk_add_f32 v[250:251], v[254:255], v[250:251]
	v_mov_b32_e32 v254, v204
	v_mov_b32_e32 v255, v245
	v_pk_fma_f32 v[172:173], v[70:71], s[8:9], v[246:247] op_sel:[0,0,1] op_sel_hi:[1,0,0]
	v_pk_fma_f32 v[246:247], v[70:71], s[8:9], v[246:247] op_sel:[0,0,1] op_sel_hi:[1,0,0] neg_lo:[0,0,1] neg_hi:[0,0,1]
	v_pk_add_f32 v[250:251], v[254:255], v[250:251]
	v_mov_b32_e32 v254, v172
	v_mov_b32_e32 v255, v247
	v_pk_add_f32 v[250:251], v[254:255], v[250:251]
	v_pk_mul_f32 v[254:255], v[118:119], s[24:25] op_sel_hi:[1,0]
	v_pk_mul_f32 v[120:121], v[120:121], s[34:35] op_sel_hi:[1,0]
	v_pk_fma_f32 v[118:119], v[96:97], s[18:19], v[254:255] op_sel:[0,0,1] op_sel_hi:[1,0,0]
	v_pk_fma_f32 v[96:97], v[96:97], s[18:19], v[254:255] op_sel:[0,0,1] op_sel_hi:[1,0,0] neg_lo:[0,0,1] neg_hi:[0,0,1]
	v_mov_b32_e32 v254, v118
	v_mov_b32_e32 v255, v97
	v_pk_fma_f32 v[248:249], v[82:83], s[10:11], v[120:121] op_sel:[0,0,1] op_sel_hi:[1,0,0]
	v_pk_fma_f32 v[82:83], v[82:83], s[10:11], v[120:121] op_sel:[0,0,1] op_sel_hi:[1,0,0] neg_lo:[0,0,1] neg_hi:[0,0,1]
	v_pk_mul_f32 v[122:123], v[122:123], s[22:23] op_sel_hi:[1,0]
	v_pk_add_f32 v[254:255], v[26:27], v[254:255]
	v_mov_b32_e32 v120, v248
	v_mov_b32_e32 v121, v83
	v_pk_add_f32 v[120:121], v[120:121], v[254:255]
	v_pk_fma_f32 v[254:255], v[80:81], s[14:15], v[122:123] op_sel:[0,0,1] op_sel_hi:[1,0,0]
	v_pk_fma_f32 v[80:81], v[80:81], s[14:15], v[122:123] op_sel:[0,0,1] op_sel_hi:[1,0,0] neg_lo:[0,0,1] neg_hi:[0,0,1]
	v_pk_mul_f32 v[124:125], v[124:125], s[38:39] op_sel_hi:[1,0]
	v_mov_b32_e32 v122, v254
	v_mov_b32_e32 v123, v81
	v_pk_add_f32 v[120:121], v[122:123], v[120:121]
	v_pk_fma_f32 v[122:123], v[78:79], s[6:7], v[124:125] op_sel:[0,0,1] op_sel_hi:[1,0,0]
	v_pk_fma_f32 v[78:79], v[78:79], s[6:7], v[124:125] op_sel:[0,0,1] op_sel_hi:[1,0,0] neg_lo:[0,0,1] neg_hi:[0,0,1]
	v_pk_mul_f32 v[126:127], v[126:127], s[20:21] op_sel_hi:[1,0]
	v_mov_b32_e32 v124, v122
	v_mov_b32_e32 v125, v79
	v_pk_add_f32 v[120:121], v[124:125], v[120:121]
	v_pk_fma_f32 v[124:125], v[76:77], s[12:13], v[126:127] op_sel:[0,0,1] op_sel_hi:[1,0,0]
	v_pk_fma_f32 v[76:77], v[76:77], s[12:13], v[126:127] op_sel:[0,0,1] op_sel_hi:[1,0,0] neg_lo:[0,0,1] neg_hi:[0,0,1]
	v_mov_b32_e32 v97, v119
	v_mov_b32_e32 v233, v7
	v_pk_mul_f32 v[128:129], v[128:129], s[30:31] op_sel_hi:[1,0]
	v_mov_b32_e32 v126, v124
	v_mov_b32_e32 v127, v77
	v_pk_add_f32 v[96:97], v[26:27], v[96:97]
	v_mov_b32_e32 v83, v249
	v_pk_add_f32 v[6:7], v[26:27], v[232:233]
	v_mov_b32_e32 v235, v5
	v_pk_add_f32 v[120:121], v[126:127], v[120:121]
	v_pk_fma_f32 v[126:127], v[74:75], s[4:5], v[128:129] op_sel:[0,0,1] op_sel_hi:[1,0,0]
	v_pk_fma_f32 v[74:75], v[74:75], s[4:5], v[128:129] op_sel:[0,0,1] op_sel_hi:[1,0,0] neg_lo:[0,0,1] neg_hi:[0,0,1]
	v_pk_add_f32 v[82:83], v[82:83], v[96:97]
	v_mov_b32_e32 v81, v255
	v_pk_add_f32 v[4:5], v[234:235], v[6:7]
	v_mov_b32_e32 v237, v3
	v_pk_mul_f32 v[130:131], v[130:131], s[16:17] op_sel_hi:[1,0]
	v_mov_b32_e32 v128, v126
	v_mov_b32_e32 v129, v75
	v_pk_add_f32 v[80:81], v[80:81], v[82:83]
	v_mov_b32_e32 v79, v123
	v_pk_add_f32 v[2:3], v[236:237], v[4:5]
	v_mov_b32_e32 v239, v231
	v_pk_add_f32 v[120:121], v[128:129], v[120:121]
	v_pk_fma_f32 v[128:129], v[72:73], s[8:9], v[130:131] op_sel:[0,0,1] op_sel_hi:[1,0,0]
	v_pk_fma_f32 v[72:73], v[72:73], s[8:9], v[130:131] op_sel:[0,0,1] op_sel_hi:[1,0,0] neg_lo:[0,0,1] neg_hi:[0,0,1]
	v_pk_add_f32 v[78:79], v[78:79], v[80:81]
	v_mov_b32_e32 v77, v125
	v_pk_add_f32 v[2:3], v[238:239], v[2:3]
	v_mov_b32_e32 v241, v1
	v_pk_mul_f32 v[132:133], v[132:133], s[40:41] op_sel_hi:[1,0]
	v_mov_b32_e32 v130, v128
	v_mov_b32_e32 v131, v73
	v_pk_add_f32 v[76:77], v[76:77], v[78:79]
	v_mov_b32_e32 v75, v127
	v_pk_add_f32 v[0:1], v[240:241], v[2:3]
	v_mov_b32_e32 v243, v23
	v_pk_add_f32 v[120:121], v[130:131], v[120:121]
	v_pk_fma_f32 v[130:131], v[70:71], s[0:1], v[132:133] op_sel:[0,0,1] op_sel_hi:[1,0,0]
	v_pk_fma_f32 v[70:71], v[70:71], s[0:1], v[132:133] op_sel:[0,0,1] op_sel_hi:[1,0,0] neg_lo:[0,0,1] neg_hi:[0,0,1]
	v_pk_add_f32 v[74:75], v[74:75], v[76:77]
	v_mov_b32_e32 v73, v129
	v_pk_add_f32 v[0:1], v[242:243], v[0:1]
	v_mov_b32_e32 v245, v205
	v_mov_b32_e32 v133, v71
	v_pk_add_f32 v[72:73], v[72:73], v[74:75]
	v_mov_b32_e32 v71, v131
	v_pk_add_f32 v[0:1], v[244:245], v[0:1]
	;; [unrolled: 2-line block ×3, first 2 shown]
	v_pk_add_f32 v[0:1], v[246:247], v[0:1]
	v_mov_b32_e32 v203, v201
	v_mov_b32_e32 v171, v169
	ds_write2_b64 v25, v[70:71], v[0:1] offset0:144 offset1:160
	v_pk_add_f32 v[0:1], v[26:27], v[202:203]
	v_mov_b32_e32 v199, v9
	v_pk_add_f32 v[2:3], v[26:27], v[170:171]
	v_mov_b32_e32 v167, v13
	;; [unrolled: 2-line block ×14, first 2 shown]
	v_pk_add_f32 v[0:1], v[228:229], v[0:1]
	v_pk_add_f32 v[2:3], v[196:197], v[2:3]
	v_mov_b32_e32 v137, v135
	v_mov_b32_e32 v87, v85
	ds_write2_b64 v25, v[0:1], v[2:3] offset0:176 offset1:192
	v_pk_add_f32 v[0:1], v[26:27], v[136:137]
	v_mov_b32_e32 v139, v141
	v_pk_add_f32 v[2:3], v[26:27], v[86:87]
	v_mov_b32_e32 v89, v91
	;; [unrolled: 2-line block ×14, first 2 shown]
	v_pk_add_f32 v[0:1], v[164:165], v[0:1]
	v_pk_add_f32 v[2:3], v[116:117], v[2:3]
	ds_write2_b64 v25, v[0:1], v[2:3] offset0:208 offset1:224
	v_mov_b32_e32 v41, v39
	v_accvgpr_read_b32 v2, a0
	v_accvgpr_read_b32 v3, a1
	v_pk_add_f32 v[0:1], v[26:27], v[40:41]
	v_mov_b32_e32 v43, v45
	v_pk_add_f32 v[2:3], v[26:27], v[2:3]
	v_accvgpr_read_b32 v4, a2
	v_accvgpr_read_b32 v5, a3
	v_pk_add_f32 v[0:1], v[42:43], v[0:1]
	v_mov_b32_e32 v49, v47
	v_pk_add_f32 v[2:3], v[4:5], v[2:3]
	v_accvgpr_read_b32 v11, a5
	v_pk_add_f32 v[0:1], v[48:49], v[0:1]
	v_mov_b32_e32 v53, v51
	v_pk_add_f32 v[2:3], v[10:11], v[2:3]
	;; [unrolled: 4-line block ×3, first 2 shown]
	v_mov_b32_e32 v19, v17
	v_pk_add_f32 v[0:1], v[56:57], v[0:1]
	v_mov_b32_e32 v61, v59
	v_pk_add_f32 v[2:3], v[18:19], v[2:3]
	;; [unrolled: 2-line block ×4, first 2 shown]
	v_mov_b32_e32 v33, v31
	v_mov_b32_e32 v132, v130
	v_pk_add_f32 v[0:1], v[64:65], v[0:1]
	v_mov_b32_e32 v69, v67
	v_pk_add_f32 v[2:3], v[32:33], v[2:3]
	;; [unrolled: 2-line block ×3, first 2 shown]
	v_pk_add_f32 v[0:1], v[68:69], v[0:1]
	v_pk_add_f32 v[2:3], v[36:37], v[2:3]
	v_add_u32_e32 v4, 0x400, v25
	ds_write2_b64 v25, v[250:251], v[120:121] offset0:112 offset1:128
	ds_write2_b64 v4, v[0:1], v[2:3] offset0:112 offset1:128
.LBB0_22:
	s_or_b64 exec, exec, s[2:3]
	s_waitcnt lgkmcnt(0)
	s_barrier
	s_and_saveexec_b64 s[0:1], vcc
	s_cbranch_execz .LBB0_24
; %bb.23:
	v_lshl_add_u32 v8, v24, 3, v62
	ds_read2_b64 v[0:3], v8 offset1:17
	v_mov_b32_e32 v25, 0
	v_add_u32_e32 v4, 17, v24
	v_lshl_add_u64 v[6:7], v[24:25], 3, v[252:253]
	v_mov_b32_e32 v5, v25
	s_waitcnt lgkmcnt(0)
	global_store_dwordx2 v[6:7], v[0:1], off
	v_lshl_add_u64 v[0:1], v[4:5], 3, v[252:253]
	ds_read2_b64 v[4:7], v8 offset0:34 offset1:51
	global_store_dwordx2 v[0:1], v[2:3], off
	v_add_u32_e32 v0, 34, v24
	v_mov_b32_e32 v1, v25
	v_lshl_add_u64 v[0:1], v[0:1], 3, v[252:253]
	s_waitcnt lgkmcnt(0)
	global_store_dwordx2 v[0:1], v[4:5], off
	v_add_u32_e32 v0, 51, v24
	v_mov_b32_e32 v1, v25
	v_lshl_add_u64 v[4:5], v[0:1], 3, v[252:253]
	ds_read2_b64 v[0:3], v8 offset0:68 offset1:85
	global_store_dwordx2 v[4:5], v[6:7], off
	v_add_u32_e32 v4, 0x44, v24
	v_mov_b32_e32 v5, v25
	v_lshl_add_u64 v[4:5], v[4:5], 3, v[252:253]
	s_waitcnt lgkmcnt(0)
	global_store_dwordx2 v[4:5], v[0:1], off
	ds_read2_b64 v[4:7], v8 offset0:102 offset1:119
	v_add_u32_e32 v0, 0x55, v24
	v_mov_b32_e32 v1, v25
	v_lshl_add_u64 v[0:1], v[0:1], 3, v[252:253]
	global_store_dwordx2 v[0:1], v[2:3], off
	v_add_u32_e32 v0, 0x66, v24
	v_mov_b32_e32 v1, v25
	v_lshl_add_u64 v[0:1], v[0:1], 3, v[252:253]
	s_waitcnt lgkmcnt(0)
	global_store_dwordx2 v[0:1], v[4:5], off
	v_add_u32_e32 v0, 0x77, v24
	v_mov_b32_e32 v1, v25
	v_lshl_add_u64 v[4:5], v[0:1], 3, v[252:253]
	ds_read2_b64 v[0:3], v8 offset0:136 offset1:153
	global_store_dwordx2 v[4:5], v[6:7], off
	v_add_u32_e32 v4, 0x88, v24
	v_mov_b32_e32 v5, v25
	v_lshl_add_u64 v[4:5], v[4:5], 3, v[252:253]
	s_waitcnt lgkmcnt(0)
	global_store_dwordx2 v[4:5], v[0:1], off
	ds_read2_b64 v[4:7], v8 offset0:170 offset1:187
	v_add_u32_e32 v0, 0x99, v24
	v_mov_b32_e32 v1, v25
	v_lshl_add_u64 v[0:1], v[0:1], 3, v[252:253]
	;; [unrolled: 20-line block ×3, first 2 shown]
	global_store_dwordx2 v[0:1], v[2:3], off
	v_add_u32_e32 v0, 0xee, v24
	v_mov_b32_e32 v1, v25
	v_lshl_add_u64 v[0:1], v[0:1], 3, v[252:253]
	v_add_u32_e32 v24, 0xff, v24
	s_waitcnt lgkmcnt(0)
	global_store_dwordx2 v[0:1], v[4:5], off
	v_lshl_add_u64 v[0:1], v[24:25], 3, v[252:253]
	global_store_dwordx2 v[0:1], v[6:7], off
.LBB0_24:
	s_endpgm
	.section	.rodata,"a",@progbits
	.p2align	6, 0x0
	.amdhsa_kernel fft_rtc_back_len272_factors_16_17_wgs_119_tpt_17_halfLds_sp_ip_CI_unitstride_sbrr_C2R_dirReg
		.amdhsa_group_segment_fixed_size 0
		.amdhsa_private_segment_fixed_size 0
		.amdhsa_kernarg_size 88
		.amdhsa_user_sgpr_count 2
		.amdhsa_user_sgpr_dispatch_ptr 0
		.amdhsa_user_sgpr_queue_ptr 0
		.amdhsa_user_sgpr_kernarg_segment_ptr 1
		.amdhsa_user_sgpr_dispatch_id 0
		.amdhsa_user_sgpr_kernarg_preload_length 0
		.amdhsa_user_sgpr_kernarg_preload_offset 0
		.amdhsa_user_sgpr_private_segment_size 0
		.amdhsa_uses_dynamic_stack 0
		.amdhsa_enable_private_segment 0
		.amdhsa_system_sgpr_workgroup_id_x 1
		.amdhsa_system_sgpr_workgroup_id_y 0
		.amdhsa_system_sgpr_workgroup_id_z 0
		.amdhsa_system_sgpr_workgroup_info 0
		.amdhsa_system_vgpr_workitem_id 0
		.amdhsa_next_free_vgpr 264
		.amdhsa_next_free_sgpr 48
		.amdhsa_accum_offset 256
		.amdhsa_reserve_vcc 1
		.amdhsa_float_round_mode_32 0
		.amdhsa_float_round_mode_16_64 0
		.amdhsa_float_denorm_mode_32 3
		.amdhsa_float_denorm_mode_16_64 3
		.amdhsa_dx10_clamp 1
		.amdhsa_ieee_mode 1
		.amdhsa_fp16_overflow 0
		.amdhsa_tg_split 0
		.amdhsa_exception_fp_ieee_invalid_op 0
		.amdhsa_exception_fp_denorm_src 0
		.amdhsa_exception_fp_ieee_div_zero 0
		.amdhsa_exception_fp_ieee_overflow 0
		.amdhsa_exception_fp_ieee_underflow 0
		.amdhsa_exception_fp_ieee_inexact 0
		.amdhsa_exception_int_div_zero 0
	.end_amdhsa_kernel
	.text
.Lfunc_end0:
	.size	fft_rtc_back_len272_factors_16_17_wgs_119_tpt_17_halfLds_sp_ip_CI_unitstride_sbrr_C2R_dirReg, .Lfunc_end0-fft_rtc_back_len272_factors_16_17_wgs_119_tpt_17_halfLds_sp_ip_CI_unitstride_sbrr_C2R_dirReg
                                        ; -- End function
	.section	.AMDGPU.csdata,"",@progbits
; Kernel info:
; codeLenInByte = 9724
; NumSgprs: 54
; NumVgprs: 256
; NumAgprs: 8
; TotalNumVgprs: 264
; ScratchSize: 0
; MemoryBound: 0
; FloatMode: 240
; IeeeMode: 1
; LDSByteSize: 0 bytes/workgroup (compile time only)
; SGPRBlocks: 6
; VGPRBlocks: 32
; NumSGPRsForWavesPerEU: 54
; NumVGPRsForWavesPerEU: 264
; AccumOffset: 256
; Occupancy: 1
; WaveLimiterHint : 1
; COMPUTE_PGM_RSRC2:SCRATCH_EN: 0
; COMPUTE_PGM_RSRC2:USER_SGPR: 2
; COMPUTE_PGM_RSRC2:TRAP_HANDLER: 0
; COMPUTE_PGM_RSRC2:TGID_X_EN: 1
; COMPUTE_PGM_RSRC2:TGID_Y_EN: 0
; COMPUTE_PGM_RSRC2:TGID_Z_EN: 0
; COMPUTE_PGM_RSRC2:TIDIG_COMP_CNT: 0
; COMPUTE_PGM_RSRC3_GFX90A:ACCUM_OFFSET: 63
; COMPUTE_PGM_RSRC3_GFX90A:TG_SPLIT: 0
	.text
	.p2alignl 6, 3212836864
	.fill 256, 4, 3212836864
	.type	__hip_cuid_60569f3e8e6f74aa,@object ; @__hip_cuid_60569f3e8e6f74aa
	.section	.bss,"aw",@nobits
	.globl	__hip_cuid_60569f3e8e6f74aa
__hip_cuid_60569f3e8e6f74aa:
	.byte	0                               ; 0x0
	.size	__hip_cuid_60569f3e8e6f74aa, 1

	.ident	"AMD clang version 19.0.0git (https://github.com/RadeonOpenCompute/llvm-project roc-6.4.0 25133 c7fe45cf4b819c5991fe208aaa96edf142730f1d)"
	.section	".note.GNU-stack","",@progbits
	.addrsig
	.addrsig_sym __hip_cuid_60569f3e8e6f74aa
	.amdgpu_metadata
---
amdhsa.kernels:
  - .agpr_count:     8
    .args:
      - .actual_access:  read_only
        .address_space:  global
        .offset:         0
        .size:           8
        .value_kind:     global_buffer
      - .offset:         8
        .size:           8
        .value_kind:     by_value
      - .actual_access:  read_only
        .address_space:  global
        .offset:         16
        .size:           8
        .value_kind:     global_buffer
      - .actual_access:  read_only
        .address_space:  global
        .offset:         24
        .size:           8
        .value_kind:     global_buffer
      - .offset:         32
        .size:           8
        .value_kind:     by_value
      - .actual_access:  read_only
        .address_space:  global
        .offset:         40
        .size:           8
        .value_kind:     global_buffer
      - .actual_access:  read_only
        .address_space:  global
        .offset:         48
        .size:           8
        .value_kind:     global_buffer
      - .offset:         56
        .size:           4
        .value_kind:     by_value
      - .actual_access:  read_only
        .address_space:  global
        .offset:         64
        .size:           8
        .value_kind:     global_buffer
      - .actual_access:  read_only
        .address_space:  global
        .offset:         72
        .size:           8
        .value_kind:     global_buffer
      - .address_space:  global
        .offset:         80
        .size:           8
        .value_kind:     global_buffer
    .group_segment_fixed_size: 0
    .kernarg_segment_align: 8
    .kernarg_segment_size: 88
    .language:       OpenCL C
    .language_version:
      - 2
      - 0
    .max_flat_workgroup_size: 119
    .name:           fft_rtc_back_len272_factors_16_17_wgs_119_tpt_17_halfLds_sp_ip_CI_unitstride_sbrr_C2R_dirReg
    .private_segment_fixed_size: 0
    .sgpr_count:     54
    .sgpr_spill_count: 0
    .symbol:         fft_rtc_back_len272_factors_16_17_wgs_119_tpt_17_halfLds_sp_ip_CI_unitstride_sbrr_C2R_dirReg.kd
    .uniform_work_group_size: 1
    .uses_dynamic_stack: false
    .vgpr_count:     264
    .vgpr_spill_count: 0
    .wavefront_size: 64
amdhsa.target:   amdgcn-amd-amdhsa--gfx950
amdhsa.version:
  - 1
  - 2
...

	.end_amdgpu_metadata
